;; amdgpu-corpus repo=ROCm/rocFFT kind=compiled arch=gfx906 opt=O3
	.text
	.amdgcn_target "amdgcn-amd-amdhsa--gfx906"
	.amdhsa_code_object_version 6
	.protected	fft_rtc_fwd_len289_factors_17_17_wgs_119_tpt_17_dp_op_CI_CI_sbrc_xy_z_unaligned_dirReg ; -- Begin function fft_rtc_fwd_len289_factors_17_17_wgs_119_tpt_17_dp_op_CI_CI_sbrc_xy_z_unaligned_dirReg
	.globl	fft_rtc_fwd_len289_factors_17_17_wgs_119_tpt_17_dp_op_CI_CI_sbrc_xy_z_unaligned_dirReg
	.p2align	8
	.type	fft_rtc_fwd_len289_factors_17_17_wgs_119_tpt_17_dp_op_CI_CI_sbrc_xy_z_unaligned_dirReg,@function
fft_rtc_fwd_len289_factors_17_17_wgs_119_tpt_17_dp_op_CI_CI_sbrc_xy_z_unaligned_dirReg: ; @fft_rtc_fwd_len289_factors_17_17_wgs_119_tpt_17_dp_op_CI_CI_sbrc_xy_z_unaligned_dirReg
; %bb.0:
	s_load_dwordx4 s[0:3], s[4:5], 0x10
	s_load_dwordx2 s[18:19], s[4:5], 0x20
	s_mov_b32 s7, 0
	s_mov_b32 s21, s7
	s_waitcnt lgkmcnt(0)
	s_load_dwordx4 s[8:11], s[0:1], 0x8
	s_load_dwordx4 s[12:15], s[2:3], 0x0
	s_load_dwordx2 s[16:17], s[2:3], 0x10
	s_waitcnt lgkmcnt(0)
	s_add_i32 s0, s10, -1
	s_mul_hi_u32 s1, s0, 0x24924925
	s_sub_i32 s0, s0, s1
	s_lshr_b32 s0, s0, 1
	s_add_i32 s0, s0, s1
	s_lshr_b32 s0, s0, 2
	s_add_i32 s0, s0, 1
	s_mul_i32 s0, s0, s8
	v_cvt_f32_u32_e32 v1, s0
	s_sub_i32 s1, 0, s0
	v_rcp_iflag_f32_e32 v1, v1
	v_mul_f32_e32 v1, 0x4f7ffffe, v1
	v_cvt_u32_f32_e32 v3, v1
	v_mov_b32_e32 v1, s8
	v_mov_b32_e32 v2, s9
	v_readfirstlane_b32 s11, v3
	s_mul_i32 s1, s1, s11
	s_mul_hi_u32 s1, s11, s1
	s_add_i32 s11, s11, s1
	s_mul_hi_u32 s1, s6, s11
	s_mul_i32 s11, s1, s0
	s_sub_i32 s11, s6, s11
	s_add_i32 s15, s1, 1
	s_sub_i32 s17, s11, s0
	s_cmp_ge_u32 s11, s0
	s_cselect_b32 s1, s15, s1
	s_cselect_b32 s11, s17, s11
	s_add_i32 s15, s1, 1
	s_cmp_ge_u32 s11, s0
	s_cselect_b32 s33, s15, s1
	s_mul_i32 s0, s33, s0
	s_sub_i32 s20, s6, s0
	v_cmp_lt_u64_e32 vcc, s[20:21], v[1:2]
	v_cvt_f32_u32_e32 v1, s8
	s_mov_b64 s[0:1], 0
	s_cbranch_vccnz .LBB0_2
; %bb.1:
	v_rcp_iflag_f32_e32 v2, v1
	s_sub_i32 s0, 0, s8
	v_mul_f32_e32 v2, 0x4f7ffffe, v2
	v_cvt_u32_f32_e32 v2, v2
	v_readfirstlane_b32 s1, v2
	s_mul_i32 s0, s0, s1
	s_mul_hi_u32 s0, s1, s0
	s_add_i32 s1, s1, s0
	s_mul_hi_u32 s0, s20, s1
	s_mul_i32 s11, s0, s8
	s_sub_i32 s11, s20, s11
	s_add_i32 s1, s0, 1
	s_sub_i32 s15, s11, s8
	s_cmp_ge_u32 s11, s8
	s_cselect_b32 s0, s1, s0
	s_cselect_b32 s11, s15, s11
	s_add_i32 s1, s0, 1
	s_cmp_ge_u32 s11, s8
	s_cselect_b32 s0, s1, s0
.LBB0_2:
	s_load_dwordx2 s[20:21], s[4:5], 0x58
	v_mov_b32_e32 v2, s8
	v_mov_b32_e32 v3, s9
	v_cmp_lt_u64_e32 vcc, s[6:7], v[2:3]
	s_cbranch_vccnz .LBB0_4
; %bb.3:
	v_rcp_iflag_f32_e32 v1, v1
	s_sub_i32 s1, 0, s8
	v_mul_f32_e32 v1, 0x4f7ffffe, v1
	v_cvt_u32_f32_e32 v1, v1
	v_readfirstlane_b32 s7, v1
	s_mul_i32 s1, s1, s7
	s_mul_hi_u32 s1, s7, s1
	s_add_i32 s7, s7, s1
	s_mul_hi_u32 s1, s6, s7
	s_mul_i32 s1, s1, s8
	s_sub_i32 s1, s6, s1
	s_sub_i32 s6, s1, s8
	s_cmp_ge_u32 s1, s8
	s_cselect_b32 s1, s6, s1
	s_sub_i32 s6, s1, s8
	s_cmp_ge_u32 s1, s8
	s_cselect_b32 s6, s6, s1
.LBB0_4:
	s_load_dwordx2 s[8:9], s[4:5], 0x8
	s_mul_i32 s66, s0, 7
	s_mul_i32 s1, s6, s14
	;; [unrolled: 1-line block ×3, first 2 shown]
	s_add_i32 s7, s1, s0
	s_waitcnt lgkmcnt(0)
	s_lshl_b64 s[8:9], s[8:9], 3
	s_add_u32 s22, s2, s8
	s_addc_u32 s23, s3, s9
	s_load_dwordx2 s[24:25], s[22:23], 0x0
	s_load_dwordx4 s[0:3], s[18:19], 0x0
	s_load_dwordx2 s[14:15], s[18:19], 0x10
	s_waitcnt lgkmcnt(0)
	s_mul_i32 s3, s25, s33
	s_mul_hi_u32 s11, s24, s33
	s_mul_i32 s15, s24, s33
	s_add_i32 s11, s11, s3
	s_add_u32 s22, s15, s7
	s_addc_u32 s23, s11, 0
	s_add_u32 s8, s18, s8
	s_addc_u32 s9, s19, s9
	s_load_dwordx2 s[8:9], s[8:9], 0x0
	s_add_i32 s3, s66, 7
	s_cmp_le_u32 s3, s10
	s_cselect_b64 s[48:49], -1, 0
	s_mov_b64 s[18:19], -1
	s_and_b64 vcc, exec, s[48:49]
	s_cbranch_vccnz .LBB0_8
; %bb.5:
	s_lshl_b64 s[18:19], s[22:23], 4
	s_add_u32 s3, s20, s18
	s_addc_u32 s11, s21, s19
	s_mov_b64 s[18:19], 0
	s_mov_b32 s7, 0xe2c5
	v_mov_b32_e32 v2, 0
	v_mov_b32_e32 v3, s11
	s_movk_i32 s11, 0x7e6
	v_mov_b32_e32 v4, v0
.LBB0_6:                                ; =>This Inner Loop Header: Depth=1
	v_mul_u32_u24_sdwa v1, v4, s7 dst_sel:DWORD dst_unused:UNUSED_PAD src0_sel:WORD_0 src1_sel:DWORD
	v_lshrrev_b32_e32 v11, 24, v1
	v_mul_lo_u16_e32 v5, 0x121, v11
	v_sub_u16_e32 v12, v4, v5
	v_mul_lo_u32 v1, s16, v11
	v_mad_u64_u32 v[5:6], s[24:25], s12, v12, 0
	v_add_u32_e32 v4, 0x77, v4
	v_lshlrev_b64 v[7:8], 4, v[1:2]
	v_mov_b32_e32 v1, v6
	v_mad_u64_u32 v[9:10], s[24:25], s13, v12, v[1:2]
	v_mov_b32_e32 v6, v9
	v_lshlrev_b64 v[5:6], 4, v[5:6]
	v_add_co_u32_e32 v1, vcc, s3, v5
	v_addc_co_u32_e32 v6, vcc, v3, v6, vcc
	v_add_co_u32_e32 v5, vcc, v1, v7
	v_addc_co_u32_e32 v6, vcc, v6, v8, vcc
	global_load_dwordx4 v[5:8], v[5:6], off
	v_mad_legacy_u16 v1, v12, 7, v11
	v_cmp_lt_u32_e32 vcc, s11, v4
	v_lshl_add_u32 v1, v1, 4, 0
	s_or_b64 s[18:19], vcc, s[18:19]
	s_waitcnt vmcnt(0)
	ds_write_b128 v1, v[5:8]
	s_andn2_b64 exec, exec, s[18:19]
	s_cbranch_execnz .LBB0_6
; %bb.7:
	s_or_b64 exec, exec, s[18:19]
	s_mov_b64 s[18:19], 0
.LBB0_8:
	s_and_b64 vcc, exec, s[18:19]
	s_cbranch_vccz .LBB0_10
; %bb.9:
	v_and_b32_e32 v3, 0xffff, v0
	v_mad_u64_u32 v[1:2], s[18:19], s12, v3, 0
	s_lshl_b64 s[18:19], s[22:23], 4
	s_add_u32 s3, s20, s18
	v_mad_u64_u32 v[2:3], s[22:23], s13, v3, v[2:3]
	v_add_u16_e32 v6, 0x77, v0
	s_addc_u32 s7, s21, s19
	v_mad_u64_u32 v[3:4], s[18:19], s12, v6, 0
	v_lshlrev_b64 v[1:2], 4, v[1:2]
	v_mov_b32_e32 v5, s7
	v_add_co_u32_e32 v9, vcc, s3, v1
	v_mov_b32_e32 v1, v4
	v_addc_co_u32_e32 v10, vcc, v5, v2, vcc
	v_mad_u64_u32 v[1:2], s[18:19], s13, v6, v[1:2]
	v_add_u16_e32 v2, 0xee, v0
	v_mul_u32_u24_e32 v4, 0xe3, v2
	v_lshrrev_b32_e32 v11, 16, v4
	v_mul_lo_u16_e32 v4, 0x121, v11
	v_sub_u16_e32 v12, v2, v4
	v_mad_u64_u32 v[13:14], s[18:19], s12, v12, 0
	v_mov_b32_e32 v4, v1
	v_lshlrev_b64 v[1:2], 4, v[3:4]
	v_mov_b32_e32 v4, s7
	v_mov_b32_e32 v3, v14
	v_mad_u64_u32 v[14:15], s[18:19], s13, v12, v[3:4]
	v_add_co_u32_e32 v15, vcc, s3, v1
	v_addc_co_u32_e32 v16, vcc, v4, v2, vcc
	global_load_dwordx4 v[5:8], v[9:10], off
	global_load_dwordx4 v[1:4], v[15:16], off
	v_lshlrev_b64 v[15:16], 4, v[13:14]
	v_add_u16_e32 v14, 0x165, v0
	v_mul_u32_u24_e32 v13, 0xe3, v14
	v_lshrrev_b32_e32 v13, 16, v13
	v_mul_lo_u16_e32 v17, 0x121, v13
	v_sub_u16_e32 v14, v14, v17
	v_mul_lo_u32 v9, s16, v11
	v_mad_u64_u32 v[17:18], s[18:19], s12, v14, 0
	v_mov_b32_e32 v10, 0
	v_mov_b32_e32 v19, s7
	v_add_co_u32_e32 v20, vcc, s3, v15
	v_addc_co_u32_e32 v21, vcc, v19, v16, vcc
	v_lshlrev_b64 v[15:16], 4, v[9:10]
	v_mov_b32_e32 v9, v18
	v_mad_u64_u32 v[18:19], s[18:19], s13, v14, v[9:10]
	v_add_co_u32_e32 v23, vcc, v20, v15
	v_addc_co_u32_e32 v24, vcc, v21, v16, vcc
	v_lshlrev_b64 v[15:16], 4, v[17:18]
	v_add_u16_e32 v18, 0x1dc, v0
	v_mul_u32_u24_e32 v19, 0xe3, v18
	v_lshrrev_b32_e32 v77, 16, v19
	v_mul_lo_u16_e32 v19, 0x121, v77
	v_sub_u16_e32 v78, v18, v19
	v_mul_lo_u32 v9, s16, v13
	v_mad_u64_u32 v[25:26], s[18:19], s12, v78, 0
	v_mov_b32_e32 v17, s7
	v_add_co_u32_e32 v19, vcc, s3, v15
	v_addc_co_u32_e32 v20, vcc, v17, v16, vcc
	v_lshlrev_b64 v[15:16], 4, v[9:10]
	v_mov_b32_e32 v9, v26
	v_mad_u64_u32 v[17:18], s[18:19], s13, v78, v[9:10]
	v_add_co_u32_e32 v27, vcc, v19, v15
	v_mov_b32_e32 v26, v17
	v_addc_co_u32_e32 v28, vcc, v20, v16, vcc
	global_load_dwordx4 v[15:18], v[23:24], off
	global_load_dwordx4 v[19:22], v[27:28], off
	v_lshlrev_b64 v[23:24], 4, v[25:26]
	v_add_u16_e32 v25, 0x253, v0
	v_mul_u32_u24_e32 v26, 0xe3, v25
	v_lshrrev_b32_e32 v79, 16, v26
	v_mul_lo_u16_e32 v26, 0x121, v79
	v_sub_u16_e32 v80, v25, v26
	v_mul_lo_u32 v9, s16, v77
	v_mad_u64_u32 v[25:26], s[18:19], s12, v80, 0
	v_mov_b32_e32 v27, s7
	v_add_co_u32_e32 v28, vcc, s3, v23
	v_addc_co_u32_e32 v29, vcc, v27, v24, vcc
	v_lshlrev_b64 v[23:24], 4, v[9:10]
	v_mov_b32_e32 v9, v26
	v_mad_u64_u32 v[26:27], s[18:19], s13, v80, v[9:10]
	v_add_co_u32_e32 v31, vcc, v28, v23
	v_addc_co_u32_e32 v32, vcc, v29, v24, vcc
	v_lshlrev_b64 v[23:24], 4, v[25:26]
	v_add_u16_e32 v26, 0x2ca, v0
	v_mul_u32_u24_e32 v27, 0xe3, v26
	v_lshrrev_b32_e32 v81, 16, v27
	v_mul_lo_u16_e32 v27, 0x121, v81
	v_sub_u16_e32 v82, v26, v27
	v_mul_lo_u32 v9, s16, v79
	v_mad_u64_u32 v[33:34], s[18:19], s12, v82, 0
	v_mov_b32_e32 v25, s7
	v_add_co_u32_e32 v26, vcc, s3, v23
	v_addc_co_u32_e32 v25, vcc, v25, v24, vcc
	v_lshlrev_b64 v[23:24], 4, v[9:10]
	v_mov_b32_e32 v9, v34
	v_mad_u64_u32 v[34:35], s[18:19], s13, v82, v[9:10]
	v_add_co_u32_e32 v35, vcc, v26, v23
	v_addc_co_u32_e32 v36, vcc, v25, v24, vcc
	global_load_dwordx4 v[23:26], v[31:32], off
	global_load_dwordx4 v[27:30], v[35:36], off
	v_lshlrev_b64 v[31:32], 4, v[33:34]
	v_add_u16_e32 v33, 0x341, v0
	v_mul_u32_u24_e32 v34, 0xe3, v33
	v_lshrrev_b32_e32 v83, 16, v34
	v_mul_lo_u16_e32 v34, 0x121, v83
	v_sub_u16_e32 v84, v33, v34
	v_mul_lo_u32 v9, s16, v81
	v_mad_u64_u32 v[33:34], s[18:19], s12, v84, 0
	v_mov_b32_e32 v35, s7
	v_add_co_u32_e32 v36, vcc, s3, v31
	v_addc_co_u32_e32 v37, vcc, v35, v32, vcc
	v_lshlrev_b64 v[31:32], 4, v[9:10]
	v_mov_b32_e32 v9, v34
	v_mad_u64_u32 v[34:35], s[18:19], s13, v84, v[9:10]
	v_add_co_u32_e32 v39, vcc, v36, v31
	v_addc_co_u32_e32 v40, vcc, v37, v32, vcc
	v_lshlrev_b64 v[31:32], 4, v[33:34]
	v_add_u16_e32 v34, 0x3b8, v0
	v_mul_u32_u24_e32 v35, 0x717, v34
	v_lshrrev_b32_e32 v85, 19, v35
	v_mul_lo_u16_e32 v35, 0x121, v85
	v_sub_u16_e32 v86, v34, v35
	v_mul_lo_u32 v9, s16, v83
	v_mad_u64_u32 v[41:42], s[18:19], s12, v86, 0
	v_mov_b32_e32 v33, s7
	v_add_co_u32_e32 v34, vcc, s3, v31
	v_addc_co_u32_e32 v33, vcc, v33, v32, vcc
	v_lshlrev_b64 v[31:32], 4, v[9:10]
	v_mov_b32_e32 v9, v42
	v_mad_u64_u32 v[42:43], s[18:19], s13, v86, v[9:10]
	v_add_co_u32_e32 v43, vcc, v34, v31
	;; [unrolled: 34-line block ×5, first 2 shown]
	v_addc_co_u32_e32 v68, vcc, v57, v56, vcc
	global_load_dwordx4 v[55:58], v[63:64], off
	global_load_dwordx4 v[59:62], v[67:68], off
	v_lshlrev_b64 v[63:64], 4, v[65:66]
	v_add_u16_e32 v65, 0x6f9, v0
	v_mul_u32_u24_e32 v66, 0x717, v65
	v_lshrrev_b32_e32 v99, 19, v66
	v_mul_lo_u16_e32 v66, 0x121, v99
	v_sub_u16_e32 v100, v65, v66
	v_mul_lo_u32 v9, s16, v97
	v_mad_u64_u32 v[65:66], s[18:19], s12, v100, 0
	v_mov_b32_e32 v67, s7
	v_add_co_u32_e32 v68, vcc, s3, v63
	v_addc_co_u32_e32 v69, vcc, v67, v64, vcc
	v_lshlrev_b64 v[63:64], 4, v[9:10]
	v_mov_b32_e32 v9, v66
	v_mad_u64_u32 v[66:67], s[18:19], s13, v100, v[9:10]
	v_add_co_u32_e32 v71, vcc, v68, v63
	v_addc_co_u32_e32 v72, vcc, v69, v64, vcc
	v_lshlrev_b64 v[63:64], 4, v[65:66]
	v_add_u16_e32 v66, 0x770, v0
	v_mul_u32_u24_e32 v67, 0x717, v66
	v_lshrrev_b32_e32 v101, 19, v67
	v_mul_lo_u16_e32 v67, 0x121, v101
	v_sub_u16_e32 v102, v66, v67
	v_mul_lo_u32 v9, s16, v99
	v_mad_u64_u32 v[73:74], s[18:19], s12, v102, 0
	v_mov_b32_e32 v65, s7
	v_add_co_u32_e32 v66, vcc, s3, v63
	v_addc_co_u32_e32 v65, vcc, v65, v64, vcc
	v_lshlrev_b64 v[63:64], 4, v[9:10]
	v_mov_b32_e32 v9, v74
	v_mad_u64_u32 v[74:75], s[12:13], s13, v102, v[9:10]
	v_mul_lo_u32 v9, s16, v101
	v_add_co_u32_e32 v75, vcc, v66, v63
	v_addc_co_u32_e32 v76, vcc, v65, v64, vcc
	global_load_dwordx4 v[63:66], v[71:72], off
	global_load_dwordx4 v[67:70], v[75:76], off
	v_lshlrev_b64 v[71:72], 4, v[73:74]
	v_mov_b32_e32 v73, s7
	v_add_co_u32_e32 v71, vcc, s3, v71
	v_lshlrev_b64 v[9:10], 4, v[9:10]
	v_addc_co_u32_e32 v72, vcc, v73, v72, vcc
	v_add_co_u32_e32 v9, vcc, v71, v9
	v_addc_co_u32_e32 v10, vcc, v72, v10, vcc
	global_load_dwordx4 v[71:74], v[9:10], off
	v_mul_lo_u16_e32 v9, 7, v0
	v_lshl_add_u32 v9, v9, 4, 0
	s_waitcnt vmcnt(16)
	ds_write_b128 v9, v[5:8]
	v_mov_b32_e32 v5, 0x341
	v_mad_legacy_u16 v5, v0, 7, v5
	v_lshl_add_u32 v5, v5, 4, 0
	s_waitcnt vmcnt(15)
	ds_write_b128 v5, v[1:4]
	v_mad_legacy_u16 v1, v12, 7, v11
	v_lshl_add_u32 v1, v1, 4, 0
	s_waitcnt vmcnt(14)
	ds_write_b128 v1, v[15:18]
	v_mad_legacy_u16 v1, v14, 7, v13
	v_lshl_add_u32 v1, v1, 4, 0
	s_waitcnt vmcnt(13)
	ds_write_b128 v1, v[19:22]
	v_mad_legacy_u16 v1, v78, 7, v77
	v_lshl_add_u32 v1, v1, 4, 0
	s_waitcnt vmcnt(12)
	ds_write_b128 v1, v[23:26]
	v_mad_legacy_u16 v1, v80, 7, v79
	v_lshl_add_u32 v1, v1, 4, 0
	s_waitcnt vmcnt(11)
	ds_write_b128 v1, v[27:30]
	v_mad_legacy_u16 v1, v82, 7, v81
	v_lshl_add_u32 v1, v1, 4, 0
	s_waitcnt vmcnt(10)
	ds_write_b128 v1, v[31:34]
	v_mad_legacy_u16 v1, v84, 7, v83
	v_lshl_add_u32 v1, v1, 4, 0
	s_waitcnt vmcnt(9)
	ds_write_b128 v1, v[35:38]
	v_mad_legacy_u16 v1, v86, 7, v85
	v_lshl_add_u32 v1, v1, 4, 0
	s_waitcnt vmcnt(8)
	ds_write_b128 v1, v[39:42]
	v_mad_legacy_u16 v1, v88, 7, v87
	v_lshl_add_u32 v1, v1, 4, 0
	s_waitcnt vmcnt(7)
	ds_write_b128 v1, v[43:46]
	v_mad_legacy_u16 v1, v90, 7, v89
	v_lshl_add_u32 v1, v1, 4, 0
	s_waitcnt vmcnt(6)
	ds_write_b128 v1, v[47:50]
	v_mad_legacy_u16 v1, v92, 7, v91
	v_lshl_add_u32 v1, v1, 4, 0
	s_waitcnt vmcnt(5)
	ds_write_b128 v1, v[51:54]
	v_mad_legacy_u16 v1, v94, 7, v93
	v_lshl_add_u32 v1, v1, 4, 0
	s_waitcnt vmcnt(4)
	ds_write_b128 v1, v[55:58]
	v_mad_legacy_u16 v1, v96, 7, v95
	v_lshl_add_u32 v1, v1, 4, 0
	s_waitcnt vmcnt(3)
	ds_write_b128 v1, v[59:62]
	v_mad_legacy_u16 v1, v98, 7, v97
	v_lshl_add_u32 v1, v1, 4, 0
	s_waitcnt vmcnt(2)
	ds_write_b128 v1, v[63:66]
	v_mad_legacy_u16 v1, v100, 7, v99
	v_lshl_add_u32 v1, v1, 4, 0
	s_waitcnt vmcnt(1)
	ds_write_b128 v1, v[67:70]
	v_mad_legacy_u16 v1, v102, 7, v101
	v_lshl_add_u32 v1, v1, 4, 0
	s_waitcnt vmcnt(0)
	ds_write_b128 v1, v[71:74]
.LBB0_10:
	s_movk_i32 s3, 0x2493
	v_mul_u32_u24_sdwa v1, v0, s3 dst_sel:DWORD dst_unused:UNUSED_PAD src0_sel:WORD_0 src1_sel:DWORD
	s_mov_b32 s3, 0x24924925
	v_mul_hi_u32 v122, v0, s3
	v_mov_b32_e32 v2, 7
	v_mul_lo_u16_sdwa v1, v1, v2 dst_sel:DWORD dst_unused:UNUSED_PAD src0_sel:WORD_1 src1_sel:DWORD
	v_sub_u16_e32 v179, v0, v1
	v_mul_u32_u24_e32 v1, 0x70, v122
	v_lshlrev_b32_e32 v123, 4, v179
	v_add3_u32 v121, 0, v1, v123
	s_waitcnt lgkmcnt(0)
	s_barrier
	ds_read_b128 v[1:4], v121
	ds_read_b128 v[5:8], v121 offset:1904
	ds_read_b128 v[9:12], v121 offset:3808
	;; [unrolled: 1-line block ×3, first 2 shown]
	s_mov_b32 s38, 0x5d8e7cdc
	s_mov_b32 s39, 0xbfd71e95
	;; [unrolled: 1-line block ×3, first 2 shown]
	s_waitcnt lgkmcnt(2)
	v_add_f64 v[17:18], v[1:2], v[5:6]
	v_add_f64 v[19:20], v[3:4], v[7:8]
	s_mov_b32 s28, 0x2a9d6da3
	s_mov_b32 s18, 0x923c349f
	s_mov_b32 s35, 0x3fedd6d0
	s_mov_b32 s29, 0xbfe58eea
	s_mov_b32 s19, 0xbfeec746
	s_mov_b32 s36, 0x75d4884
	s_waitcnt lgkmcnt(1)
	v_add_f64 v[17:18], v[17:18], v[9:10]
	v_add_f64 v[19:20], v[19:20], v[11:12]
	s_mov_b32 s26, 0x7c9e640b
	ds_read_b128 v[21:24], v121 offset:9520
	s_mov_b32 s22, 0xeb564b22
	s_mov_b32 s12, 0xc61f0d01
	;; [unrolled: 1-line block ×4, first 2 shown]
	s_waitcnt lgkmcnt(1)
	v_add_f64 v[25:26], v[17:18], v[13:14]
	v_add_f64 v[27:28], v[19:20], v[15:16]
	ds_read_b128 v[17:20], v121 offset:7616
	s_mov_b32 s40, 0xacd6c6b4
	s_mov_b32 s37, 0x3fe7a5f6
	s_mov_b32 s27, 0xbfeca52d
	s_mov_b32 s23, 0xbfefdd0d
	s_mov_b32 s13, 0xbfd183b1
	s_waitcnt lgkmcnt(0)
	v_add_f64 v[25:26], v[25:26], v[17:18]
	v_add_f64 v[27:28], v[27:28], v[19:20]
	s_mov_b32 s21, 0xbfe9895b
	ds_read_b128 v[29:32], v121 offset:13328
	s_mov_b32 s43, 0xbfe0d888
	s_mov_b32 s41, 0xbfc7851a
	;; [unrolled: 1-line block ×4, first 2 shown]
	v_add_f64 v[33:34], v[25:26], v[21:22]
	v_add_f64 v[35:36], v[27:28], v[23:24]
	ds_read_b128 v[25:28], v121 offset:11424
	s_mov_b32 s16, 0x6ed5f1bb
	s_mov_b32 s44, 0x910ea3b9
	;; [unrolled: 1-line block ×5, first 2 shown]
	s_waitcnt lgkmcnt(0)
	v_add_f64 v[37:38], v[33:34], v[25:26]
	v_add_f64 v[39:40], v[35:36], v[27:28]
	ds_read_b128 v[33:36], v121 offset:15232
	ds_read_b128 v[49:52], v121 offset:17136
	;; [unrolled: 1-line block ×8, first 2 shown]
	s_waitcnt lgkmcnt(5)
	v_add_f64 v[41:42], v[29:30], v[59:60]
	s_waitcnt lgkmcnt(4)
	v_add_f64 v[57:58], v[25:26], -v[73:74]
	v_add_f64 v[55:56], v[31:32], -v[61:62]
	;; [unrolled: 1-line block ×3, first 2 shown]
	v_add_f64 v[37:38], v[37:38], v[29:30]
	v_add_f64 v[39:40], v[39:40], v[31:32]
	v_add_f64 v[47:48], v[35:36], -v[51:52]
	s_waitcnt lgkmcnt(3)
	v_add_f64 v[65:66], v[21:22], -v[85:86]
	v_add_f64 v[71:72], v[23:24], -v[87:88]
	;; [unrolled: 1-line block ×3, first 2 shown]
	s_waitcnt lgkmcnt(2)
	v_add_f64 v[69:70], v[17:18], v[93:94]
	s_waitcnt lgkmcnt(1)
	v_add_f64 v[77:78], v[13:14], v[97:98]
	v_add_f64 v[45:46], v[37:38], v[33:34]
	;; [unrolled: 1-line block ×5, first 2 shown]
	v_add_f64 v[83:84], v[13:14], -v[97:98]
	ds_read_b128 v[105:108], v121 offset:30464
	s_waitcnt lgkmcnt(1)
	v_add_f64 v[81:82], v[11:12], v[103:104]
	v_add_f64 v[89:90], v[9:10], -v[101:102]
	v_add_f64 v[33:34], v[45:46], v[49:50]
	v_add_f64 v[35:36], v[53:54], v[51:52]
	v_add_f64 v[53:54], v[29:30], -v[59:60]
	v_add_f64 v[49:50], v[25:26], v[73:74]
	v_add_f64 v[45:46], v[31:32], v[61:62]
	;; [unrolled: 1-line block ×3, first 2 shown]
	v_add_f64 v[91:92], v[11:12], -v[103:104]
	v_add_f64 v[67:68], v[19:20], v[95:96]
	v_add_f64 v[25:26], v[33:34], v[59:60]
	;; [unrolled: 1-line block ×5, first 2 shown]
	v_add_f64 v[79:80], v[19:20], -v[95:96]
	s_waitcnt lgkmcnt(0)
	v_add_f64 v[19:20], v[5:6], -v[105:106]
	s_mov_b32 s17, 0xbfe348c8
	s_mov_b32 s45, 0xbfeb34fa
	v_add_f64 v[21:22], v[25:26], v[73:74]
	v_add_f64 v[23:24], v[29:30], v[75:76]
	v_add_f64 v[75:76], v[17:18], -v[93:94]
	v_add_f64 v[73:74], v[15:16], v[99:100]
	s_mov_b32 s47, 0xbfef7484
	v_mul_f64 v[109:110], v[19:20], s[22:23]
	v_mul_f64 v[111:112], v[19:20], s[18:19]
	;; [unrolled: 1-line block ×3, first 2 shown]
	v_add_f64 v[13:14], v[21:22], v[85:86]
	v_add_f64 v[17:18], v[23:24], v[87:88]
	v_add_f64 v[87:88], v[15:16], -v[99:100]
	v_add_f64 v[85:86], v[9:10], v[101:102]
	v_add_f64 v[15:16], v[7:8], -v[107:108]
	v_mul_f64 v[117:118], v[19:20], s[42:43]
	v_mul_f64 v[146:147], v[91:92], s[28:29]
	;; [unrolled: 1-line block ×3, first 2 shown]
	v_add_f64 v[9:10], v[13:14], v[93:94]
	v_add_f64 v[11:12], v[17:18], v[95:96]
	;; [unrolled: 1-line block ×4, first 2 shown]
	v_mul_f64 v[5:6], v[15:16], s[38:39]
	v_mul_f64 v[7:8], v[15:16], s[28:29]
	;; [unrolled: 1-line block ×4, first 2 shown]
	v_add_f64 v[9:10], v[9:10], v[97:98]
	v_add_f64 v[11:12], v[11:12], v[99:100]
	v_mul_f64 v[23:24], v[15:16], s[22:23]
	v_mul_f64 v[27:28], v[15:16], s[20:21]
	v_fma_f64 v[29:30], v[13:14], s[34:35], -v[5:6]
	v_fma_f64 v[31:32], v[13:14], s[34:35], v[5:6]
	v_fma_f64 v[33:34], v[13:14], s[36:37], -v[7:8]
	v_fma_f64 v[95:96], v[13:14], s[12:13], -v[25:26]
	v_add_f64 v[5:6], v[9:10], v[101:102]
	v_add_f64 v[9:10], v[11:12], v[103:104]
	v_fma_f64 v[11:12], v[13:14], s[36:37], v[7:8]
	v_mul_f64 v[101:102], v[19:20], s[38:39]
	v_fma_f64 v[35:36], v[13:14], s[30:31], -v[21:22]
	v_fma_f64 v[21:22], v[13:14], s[30:31], v[21:22]
	v_fma_f64 v[93:94], v[13:14], s[24:25], -v[23:24]
	v_fma_f64 v[23:24], v[13:14], s[24:25], v[23:24]
	v_add_f64 v[5:6], v[5:6], v[105:106]
	v_add_f64 v[7:8], v[9:10], v[107:108]
	v_fma_f64 v[9:10], v[13:14], s[12:13], v[25:26]
	v_mul_f64 v[25:26], v[15:16], s[42:43]
	v_mul_f64 v[15:16], v[15:16], s[40:41]
	v_fma_f64 v[97:98], v[13:14], s[16:17], -v[27:28]
	v_fma_f64 v[27:28], v[13:14], s[16:17], v[27:28]
	v_mul_f64 v[103:104], v[19:20], s[28:29]
	v_mul_f64 v[105:106], v[19:20], s[26:27]
	v_mul_f64 v[19:20], v[19:20], s[40:41]
	v_fma_f64 v[119:120], v[17:18], s[24:25], v[109:110]
	v_fma_f64 v[99:100], v[13:14], s[44:45], -v[25:26]
	v_fma_f64 v[25:26], v[13:14], s[44:45], v[25:26]
	v_fma_f64 v[124:125], v[13:14], s[46:47], -v[15:16]
	v_fma_f64 v[13:14], v[13:14], s[46:47], v[15:16]
	v_fma_f64 v[15:16], v[17:18], s[34:35], v[101:102]
	v_fma_f64 v[101:102], v[17:18], s[34:35], -v[101:102]
	v_fma_f64 v[107:108], v[17:18], s[36:37], v[103:104]
	v_fma_f64 v[103:104], v[17:18], s[36:37], -v[103:104]
	;; [unrolled: 2-line block ×3, first 2 shown]
	v_fma_f64 v[109:110], v[17:18], s[24:25], -v[109:110]
	v_fma_f64 v[126:127], v[17:18], s[12:13], v[111:112]
	v_fma_f64 v[111:112], v[17:18], s[12:13], -v[111:112]
	v_fma_f64 v[128:129], v[17:18], s[16:17], v[115:116]
	;; [unrolled: 2-line block ×4, first 2 shown]
	v_fma_f64 v[17:18], v[17:18], s[46:47], -v[19:20]
	v_add_f64 v[19:20], v[1:2], v[29:30]
	v_add_f64 v[15:16], v[3:4], v[15:16]
	;; [unrolled: 1-line block ×4, first 2 shown]
	v_fma_f64 v[93:94], v[85:86], s[36:37], -v[146:147]
	v_fma_f64 v[101:102], v[81:82], s[36:37], v[148:149]
	v_mul_f64 v[158:159], v[87:88], s[26:27]
	v_mul_f64 v[160:161], v[83:84], s[26:27]
	v_add_f64 v[162:163], v[1:2], v[23:24]
	v_add_f64 v[29:30], v[3:4], v[126:127]
	v_mul_f64 v[126:127], v[79:80], s[22:23]
	v_mul_f64 v[166:167], v[75:76], s[22:23]
	v_add_f64 v[19:20], v[93:94], v[19:20]
	v_add_f64 v[15:16], v[101:102], v[15:16]
	v_fma_f64 v[23:24], v[77:78], s[30:31], -v[158:159]
	v_fma_f64 v[93:94], v[73:74], s[30:31], v[160:161]
	v_add_f64 v[150:151], v[3:4], v[113:114]
	v_add_f64 v[156:157], v[3:4], v[119:120]
	v_add_f64 v[119:120], v[1:2], v[9:10]
	v_add_f64 v[113:114], v[3:4], v[128:129]
	v_mul_f64 v[128:129], v[71:72], s[18:19]
	v_mul_f64 v[168:169], v[65:66], s[18:19]
	v_add_f64 v[9:10], v[23:24], v[19:20]
	v_add_f64 v[15:16], v[93:94], v[15:16]
	v_fma_f64 v[19:20], v[69:70], s[24:25], -v[126:127]
	v_fma_f64 v[23:24], v[67:68], s[24:25], v[166:167]
	v_add_f64 v[164:165], v[3:4], v[109:110]
	v_add_f64 v[117:118], v[3:4], v[111:112]
	;; [unrolled: 10-line block ×3, first 2 shown]
	v_add_f64 v[107:108], v[1:2], v[99:100]
	v_add_f64 v[103:104], v[1:2], v[25:26]
	;; [unrolled: 1-line block ×3, first 2 shown]
	v_mul_f64 v[25:26], v[55:56], s[42:43]
	v_add_f64 v[9:10], v[19:20], v[9:10]
	v_add_f64 v[15:16], v[23:24], v[15:16]
	v_fma_f64 v[19:20], v[49:50], s[16:17], -v[27:28]
	v_fma_f64 v[23:24], v[51:52], s[16:17], v[130:131]
	v_mul_f64 v[124:125], v[53:54], s[42:43]
	v_add_f64 v[138:139], v[1:2], v[31:32]
	v_add_f64 v[33:34], v[1:2], v[33:34]
	;; [unrolled: 1-line block ×13, first 2 shown]
	v_fma_f64 v[1:2], v[85:86], s[36:37], v[146:147]
	v_fma_f64 v[3:4], v[81:82], s[36:37], -v[148:149]
	v_add_f64 v[9:10], v[19:20], v[9:10]
	v_add_f64 v[13:14], v[23:24], v[15:16]
	v_fma_f64 v[15:16], v[41:42], s[44:45], -v[25:26]
	v_fma_f64 v[17:18], v[45:46], s[44:45], v[124:125]
	v_mul_f64 v[19:20], v[47:48], s[40:41]
	v_mul_f64 v[23:24], v[43:44], s[40:41]
	v_add_f64 v[1:2], v[1:2], v[138:139]
	v_add_f64 v[3:4], v[3:4], v[140:141]
	v_fma_f64 v[132:133], v[77:78], s[30:31], v[158:159]
	v_fma_f64 v[134:135], v[73:74], s[30:31], -v[160:161]
	v_add_f64 v[9:10], v[15:16], v[9:10]
	v_add_f64 v[13:14], v[17:18], v[13:14]
	v_fma_f64 v[15:16], v[39:40], s[46:47], -v[19:20]
	v_fma_f64 v[17:18], v[37:38], s[46:47], v[23:24]
	v_mul_f64 v[136:137], v[91:92], s[22:23]
	v_mul_f64 v[138:139], v[89:90], s[22:23]
	v_add_f64 v[132:133], v[132:133], v[1:2]
	v_add_f64 v[134:135], v[134:135], v[3:4]
	;; [unrolled: 10-line block ×3, first 2 shown]
	v_fma_f64 v[128:129], v[59:60], s[12:13], v[128:129]
	v_fma_f64 v[134:135], v[61:62], s[12:13], -v[168:169]
	v_add_f64 v[9:10], v[9:10], v[33:34]
	v_add_f64 v[13:14], v[13:14], v[142:143]
	v_fma_f64 v[33:34], v[77:78], s[16:17], -v[15:16]
	v_fma_f64 v[140:141], v[73:74], s[16:17], v[17:18]
	v_mul_f64 v[142:143], v[79:80], s[40:41]
	v_mul_f64 v[146:147], v[75:76], s[40:41]
	s_mov_b32 s51, 0x3fe0d888
	s_mov_b32 s50, s42
	v_add_f64 v[126:127], v[128:129], v[126:127]
	v_add_f64 v[128:129], v[134:135], v[132:133]
	v_fma_f64 v[27:28], v[49:50], s[16:17], v[27:28]
	v_fma_f64 v[130:131], v[51:52], s[16:17], -v[130:131]
	v_add_f64 v[9:10], v[33:34], v[9:10]
	v_add_f64 v[13:14], v[140:141], v[13:14]
	v_fma_f64 v[33:34], v[69:70], s[46:47], -v[142:143]
	v_fma_f64 v[132:133], v[67:68], s[46:47], v[146:147]
	v_mul_f64 v[134:135], v[71:72], s[50:51]
	v_mul_f64 v[140:141], v[65:66], s[50:51]
	s_mov_b32 s53, 0x3feec746
	s_mov_b32 s52, s18
	v_add_f64 v[27:28], v[27:28], v[126:127]
	v_add_f64 v[126:127], v[130:131], v[128:129]
	v_fma_f64 v[25:26], v[41:42], s[44:45], v[25:26]
	v_fma_f64 v[124:125], v[45:46], s[44:45], -v[124:125]
	v_add_f64 v[9:10], v[33:34], v[9:10]
	v_add_f64 v[13:14], v[132:133], v[13:14]
	v_fma_f64 v[33:34], v[59:60], s[44:45], -v[134:135]
	v_fma_f64 v[128:129], v[61:62], s[44:45], v[140:141]
	v_mul_f64 v[130:131], v[63:64], s[52:53]
	s_mov_b32 s57, 0x3feca52d
	v_add_f64 v[25:26], v[25:26], v[27:28]
	v_add_f64 v[27:28], v[124:125], v[126:127]
	v_mul_f64 v[124:125], v[57:58], s[52:53]
	v_fma_f64 v[126:127], v[85:86], s[24:25], v[136:137]
	v_add_f64 v[9:10], v[33:34], v[9:10]
	v_add_f64 v[13:14], v[128:129], v[13:14]
	v_fma_f64 v[33:34], v[49:50], s[12:13], -v[130:131]
	v_fma_f64 v[128:129], v[81:82], s[24:25], -v[138:139]
	s_mov_b32 s56, s26
	v_fma_f64 v[23:24], v[37:38], s[46:47], -v[23:24]
	v_fma_f64 v[132:133], v[51:52], s[12:13], v[124:125]
	v_mul_f64 v[136:137], v[55:56], s[56:57]
	v_mul_f64 v[138:139], v[53:54], s[56:57]
	v_fma_f64 v[15:16], v[77:78], s[16:17], v[15:16]
	v_add_f64 v[33:34], v[33:34], v[9:10]
	v_add_f64 v[9:10], v[126:127], v[11:12]
	v_add_f64 v[11:12], v[128:129], v[144:145]
	v_fma_f64 v[17:18], v[73:74], s[16:17], -v[17:18]
	v_fma_f64 v[19:20], v[39:40], s[46:47], v[19:20]
	v_add_f64 v[13:14], v[132:133], v[13:14]
	v_fma_f64 v[126:127], v[41:42], s[30:31], -v[136:137]
	v_fma_f64 v[128:129], v[45:46], s[30:31], v[138:139]
	v_fma_f64 v[142:143], v[69:70], s[46:47], v[142:143]
	v_add_f64 v[15:16], v[15:16], v[9:10]
	v_fma_f64 v[144:145], v[67:68], s[46:47], -v[146:147]
	v_add_f64 v[17:18], v[17:18], v[11:12]
	v_add_f64 v[11:12], v[23:24], v[27:28]
	v_mul_f64 v[23:24], v[91:92], s[20:21]
	s_mov_b32 s55, 0x3fc7851a
	s_mov_b32 s54, s40
	v_add_f64 v[9:10], v[19:20], v[25:26]
	v_add_f64 v[19:20], v[126:127], v[33:34]
	;; [unrolled: 1-line block ×5, first 2 shown]
	v_fma_f64 v[27:28], v[59:60], s[44:45], v[134:135]
	v_fma_f64 v[33:34], v[61:62], s[44:45], -v[140:141]
	v_fma_f64 v[128:129], v[85:86], s[16:17], -v[23:24]
	v_mul_f64 v[134:135], v[89:90], s[20:21]
	v_mul_f64 v[140:141], v[87:88], s[54:55]
	s_mov_b32 s59, 0x3fd71e95
	s_mov_b32 s58, s38
	v_mul_f64 v[132:133], v[47:48], s[58:59]
	v_mul_f64 v[126:127], v[43:44], s[58:59]
	v_add_f64 v[15:16], v[27:28], v[15:16]
	v_add_f64 v[17:18], v[33:34], v[17:18]
	v_fma_f64 v[27:28], v[49:50], s[12:13], v[130:131]
	v_fma_f64 v[33:34], v[51:52], s[12:13], -v[124:125]
	v_add_f64 v[35:36], v[128:129], v[35:36]
	v_fma_f64 v[128:129], v[81:82], s[16:17], v[134:135]
	v_fma_f64 v[130:131], v[77:78], s[46:47], -v[140:141]
	v_mul_f64 v[142:143], v[83:84], s[54:55]
	v_mul_f64 v[144:145], v[79:80], s[52:53]
	s_mov_b32 s61, 0x3fe58eea
	s_mov_b32 s60, s28
	v_fma_f64 v[25:26], v[39:40], s[34:35], -v[132:133]
	v_fma_f64 v[124:125], v[37:38], s[34:35], v[126:127]
	v_add_f64 v[15:16], v[27:28], v[15:16]
	v_add_f64 v[27:28], v[33:34], v[17:18]
	v_fma_f64 v[33:34], v[41:42], s[30:31], v[136:137]
	v_fma_f64 v[136:137], v[45:46], s[30:31], -v[138:139]
	v_add_f64 v[128:129], v[128:129], v[150:151]
	v_add_f64 v[35:36], v[130:131], v[35:36]
	v_fma_f64 v[130:131], v[73:74], s[46:47], v[142:143]
	v_fma_f64 v[138:139], v[69:70], s[12:13], -v[144:145]
	v_mul_f64 v[148:149], v[71:72], s[60:61]
	v_add_f64 v[17:18], v[25:26], v[19:20]
	v_add_f64 v[19:20], v[124:125], v[13:14]
	;; [unrolled: 1-line block ×4, first 2 shown]
	v_mul_f64 v[146:147], v[75:76], s[52:53]
	v_add_f64 v[25:26], v[130:131], v[128:129]
	v_add_f64 v[27:28], v[138:139], v[35:36]
	v_fma_f64 v[35:36], v[59:60], s[36:37], -v[148:149]
	v_mul_f64 v[128:129], v[63:64], s[38:39]
	v_fma_f64 v[130:131], v[39:40], s[34:35], v[132:133]
	v_fma_f64 v[23:24], v[85:86], s[16:17], v[23:24]
	v_fma_f64 v[132:133], v[81:82], s[16:17], -v[134:135]
	v_mul_f64 v[136:137], v[55:56], s[22:23]
	v_fma_f64 v[33:34], v[67:68], s[12:13], v[146:147]
	v_mul_f64 v[124:125], v[65:66], s[60:61]
	v_add_f64 v[27:28], v[35:36], v[27:28]
	v_fma_f64 v[35:36], v[49:50], s[34:35], -v[128:129]
	v_fma_f64 v[138:139], v[73:74], s[46:47], -v[142:143]
	v_add_f64 v[21:22], v[23:24], v[21:22]
	v_add_f64 v[23:24], v[132:133], v[152:153]
	;; [unrolled: 1-line block ×3, first 2 shown]
	v_fma_f64 v[130:131], v[41:42], s[24:25], -v[136:137]
	v_add_f64 v[25:26], v[33:34], v[25:26]
	v_fma_f64 v[33:34], v[61:62], s[36:37], v[124:125]
	v_add_f64 v[27:28], v[35:36], v[27:28]
	v_mul_f64 v[134:135], v[57:58], s[38:39]
	v_fma_f64 v[132:133], v[77:78], s[46:47], v[140:141]
	v_add_f64 v[23:24], v[138:139], v[23:24]
	v_fma_f64 v[138:139], v[67:68], s[12:13], -v[146:147]
	v_fma_f64 v[126:127], v[37:38], s[34:35], -v[126:127]
	v_mul_f64 v[35:36], v[53:54], s[22:23]
	v_add_f64 v[25:26], v[33:34], v[25:26]
	v_add_f64 v[27:28], v[130:131], v[27:28]
	v_mul_f64 v[130:131], v[91:92], s[40:41]
	v_fma_f64 v[33:34], v[51:52], s[34:35], v[134:135]
	v_add_f64 v[21:22], v[132:133], v[21:22]
	v_fma_f64 v[132:133], v[69:70], s[12:13], v[144:145]
	v_add_f64 v[23:24], v[138:139], v[23:24]
	v_fma_f64 v[124:125], v[61:62], s[36:37], -v[124:125]
	v_mul_f64 v[142:143], v[89:90], s[40:41]
	v_mul_f64 v[144:145], v[87:88], s[52:53]
	v_fma_f64 v[140:141], v[85:86], s[46:47], -v[130:131]
	v_add_f64 v[15:16], v[126:127], v[15:16]
	v_add_f64 v[25:26], v[33:34], v[25:26]
	v_fma_f64 v[33:34], v[45:46], s[24:25], v[35:36]
	v_mul_f64 v[126:127], v[47:48], s[42:43]
	v_add_f64 v[21:22], v[132:133], v[21:22]
	v_fma_f64 v[132:133], v[59:60], s[36:37], v[148:149]
	v_mul_f64 v[138:139], v[43:44], s[42:43]
	v_add_f64 v[23:24], v[124:125], v[23:24]
	v_fma_f64 v[124:125], v[49:50], s[34:35], v[128:129]
	v_fma_f64 v[128:129], v[51:52], s[34:35], -v[134:135]
	v_add_f64 v[134:135], v[140:141], v[154:155]
	v_fma_f64 v[140:141], v[81:82], s[46:47], v[142:143]
	v_fma_f64 v[146:147], v[77:78], s[12:13], -v[144:145]
	v_mul_f64 v[150:151], v[79:80], s[58:59]
	v_add_f64 v[25:26], v[33:34], v[25:26]
	v_fma_f64 v[33:34], v[39:40], s[44:45], -v[126:127]
	v_add_f64 v[21:22], v[132:133], v[21:22]
	v_fma_f64 v[132:133], v[37:38], s[44:45], v[138:139]
	v_mul_f64 v[148:149], v[83:84], s[52:53]
	v_add_f64 v[128:129], v[128:129], v[23:24]
	v_fma_f64 v[35:36], v[45:46], s[24:25], -v[35:36]
	v_add_f64 v[140:141], v[140:141], v[156:157]
	v_add_f64 v[134:135], v[146:147], v[134:135]
	v_fma_f64 v[152:153], v[69:70], s[34:35], -v[150:151]
	v_mul_f64 v[156:157], v[71:72], s[26:27]
	v_add_f64 v[124:125], v[124:125], v[21:22]
	v_fma_f64 v[136:137], v[41:42], s[24:25], v[136:137]
	v_fma_f64 v[146:147], v[73:74], s[12:13], v[148:149]
	v_mul_f64 v[154:155], v[75:76], s[58:59]
	v_add_f64 v[21:22], v[33:34], v[27:28]
	v_add_f64 v[23:24], v[132:133], v[25:26]
	;; [unrolled: 1-line block ×4, first 2 shown]
	v_fma_f64 v[128:129], v[59:60], s[30:31], -v[156:157]
	v_fma_f64 v[132:133], v[81:82], s[46:47], -v[142:143]
	v_add_f64 v[25:26], v[136:137], v[124:125]
	v_add_f64 v[33:34], v[146:147], v[140:141]
	v_fma_f64 v[124:125], v[67:68], s[34:35], v[154:155]
	v_fma_f64 v[130:131], v[85:86], s[46:47], v[130:131]
	v_fma_f64 v[134:135], v[37:38], s[44:45], -v[138:139]
	v_mul_f64 v[136:137], v[65:66], s[26:27]
	v_add_f64 v[35:36], v[128:129], v[35:36]
	v_add_f64 v[128:129], v[132:133], v[164:165]
	v_fma_f64 v[132:133], v[73:74], s[12:13], -v[148:149]
	v_mul_f64 v[138:139], v[63:64], s[42:43]
	v_add_f64 v[33:34], v[124:125], v[33:34]
	v_add_f64 v[124:125], v[130:131], v[162:163]
	v_fma_f64 v[130:131], v[77:78], s[12:13], v[144:145]
	s_mov_b32 s63, 0x3fe9895b
	s_mov_b32 s62, s20
	v_fma_f64 v[140:141], v[61:62], s[30:31], v[136:137]
	v_add_f64 v[128:129], v[132:133], v[128:129]
	v_fma_f64 v[132:133], v[67:68], s[34:35], -v[154:155]
	v_fma_f64 v[142:143], v[49:50], s[44:45], -v[138:139]
	v_mul_f64 v[144:145], v[57:58], s[42:43]
	v_mul_f64 v[146:147], v[55:56], s[62:63]
	v_add_f64 v[124:125], v[130:131], v[124:125]
	v_fma_f64 v[130:131], v[69:70], s[34:35], v[150:151]
	v_fma_f64 v[126:127], v[39:40], s[44:45], v[126:127]
	v_add_f64 v[33:34], v[140:141], v[33:34]
	v_add_f64 v[128:129], v[132:133], v[128:129]
	v_fma_f64 v[132:133], v[61:62], s[30:31], -v[136:137]
	v_add_f64 v[35:36], v[142:143], v[35:36]
	v_mul_f64 v[140:141], v[53:54], s[62:63]
	v_fma_f64 v[142:143], v[41:42], s[16:17], -v[146:147]
	v_add_f64 v[124:125], v[130:131], v[124:125]
	v_fma_f64 v[130:131], v[59:60], s[30:31], v[156:157]
	v_mul_f64 v[136:137], v[91:92], s[50:51]
	v_add_f64 v[25:26], v[126:127], v[25:26]
	v_add_f64 v[128:129], v[132:133], v[128:129]
	v_fma_f64 v[132:133], v[51:52], s[44:45], -v[144:145]
	v_fma_f64 v[126:127], v[51:52], s[44:45], v[144:145]
	v_add_f64 v[35:36], v[142:143], v[35:36]
	v_mul_f64 v[144:145], v[89:90], s[50:51]
	v_add_f64 v[124:125], v[130:131], v[124:125]
	v_fma_f64 v[130:131], v[49:50], s[44:45], v[138:139]
	v_mul_f64 v[138:139], v[43:44], s[60:61]
	v_fma_f64 v[142:143], v[85:86], s[44:45], -v[136:137]
	v_mul_f64 v[148:149], v[87:88], s[60:61]
	v_add_f64 v[128:129], v[132:133], v[128:129]
	v_fma_f64 v[132:133], v[45:46], s[16:17], -v[140:141]
	v_add_f64 v[27:28], v[134:135], v[27:28]
	v_add_f64 v[33:34], v[126:127], v[33:34]
	v_fma_f64 v[126:127], v[45:46], s[16:17], v[140:141]
	v_mul_f64 v[134:135], v[47:48], s[60:61]
	v_add_f64 v[124:125], v[130:131], v[124:125]
	v_fma_f64 v[130:131], v[41:42], s[16:17], v[146:147]
	v_add_f64 v[31:32], v[142:143], v[31:32]
	v_fma_f64 v[142:143], v[81:82], s[44:45], v[144:145]
	v_fma_f64 v[146:147], v[77:78], s[36:37], -v[148:149]
	v_mul_f64 v[150:151], v[83:84], s[60:61]
	v_mul_f64 v[152:153], v[79:80], s[26:27]
	v_add_f64 v[128:129], v[132:133], v[128:129]
	v_fma_f64 v[132:133], v[37:38], s[36:37], -v[138:139]
	v_add_f64 v[126:127], v[126:127], v[33:34]
	v_fma_f64 v[33:34], v[39:40], s[36:37], -v[134:135]
	v_fma_f64 v[140:141], v[37:38], s[36:37], v[138:139]
	v_add_f64 v[124:125], v[130:131], v[124:125]
	v_fma_f64 v[130:131], v[39:40], s[36:37], v[134:135]
	v_add_f64 v[134:135], v[142:143], v[29:30]
	v_add_f64 v[138:139], v[146:147], v[31:32]
	v_fma_f64 v[142:143], v[73:74], s[36:37], v[150:151]
	v_fma_f64 v[146:147], v[69:70], s[30:31], -v[152:153]
	v_mul_f64 v[154:155], v[75:76], s[26:27]
	v_mul_f64 v[156:157], v[71:72], s[40:41]
	v_add_f64 v[31:32], v[132:133], v[128:129]
	v_fma_f64 v[128:129], v[85:86], s[44:45], v[136:137]
	v_add_f64 v[33:34], v[33:34], v[35:36]
	v_add_f64 v[35:36], v[140:141], v[126:127]
	;; [unrolled: 1-line block ×5, first 2 shown]
	v_fma_f64 v[130:131], v[67:68], s[30:31], v[154:155]
	v_fma_f64 v[132:133], v[59:60], s[46:47], -v[156:157]
	v_mul_f64 v[134:135], v[65:66], s[40:41]
	v_fma_f64 v[136:137], v[81:82], s[44:45], -v[144:145]
	v_add_f64 v[119:120], v[128:129], v[119:120]
	v_fma_f64 v[128:129], v[77:78], s[36:37], v[148:149]
	s_mov_b32 s65, 0x3fefdd0d
	s_mov_b32 s64, s22
	v_mul_f64 v[138:139], v[63:64], s[64:65]
	v_add_f64 v[124:125], v[130:131], v[124:125]
	v_fma_f64 v[130:131], v[61:62], s[46:47], v[134:135]
	v_mul_f64 v[140:141], v[57:58], s[64:65]
	v_add_f64 v[126:127], v[132:133], v[126:127]
	v_add_f64 v[117:118], v[136:137], v[117:118]
	v_fma_f64 v[132:133], v[73:74], s[36:37], -v[150:151]
	v_add_f64 v[119:120], v[128:129], v[119:120]
	v_fma_f64 v[128:129], v[69:70], s[30:31], v[152:153]
	v_fma_f64 v[136:137], v[49:50], s[24:25], -v[138:139]
	v_add_f64 v[124:125], v[130:131], v[124:125]
	v_fma_f64 v[130:131], v[51:52], s[24:25], v[140:141]
	v_mul_f64 v[142:143], v[55:56], s[38:39]
	v_mul_f64 v[144:145], v[53:54], s[38:39]
	v_add_f64 v[117:118], v[132:133], v[117:118]
	v_fma_f64 v[132:133], v[67:68], s[30:31], -v[154:155]
	v_add_f64 v[119:120], v[128:129], v[119:120]
	v_fma_f64 v[128:129], v[59:60], s[46:47], v[156:157]
	v_add_f64 v[126:127], v[136:137], v[126:127]
	v_add_f64 v[124:125], v[130:131], v[124:125]
	v_fma_f64 v[130:131], v[41:42], s[34:35], -v[142:143]
	v_fma_f64 v[136:137], v[45:46], s[34:35], v[144:145]
	v_mul_f64 v[146:147], v[47:48], s[20:21]
	v_add_f64 v[117:118], v[132:133], v[117:118]
	v_fma_f64 v[132:133], v[61:62], s[46:47], -v[134:135]
	v_mul_f64 v[134:135], v[43:44], s[20:21]
	v_add_f64 v[119:120], v[128:129], v[119:120]
	v_fma_f64 v[128:129], v[49:50], s[24:25], v[138:139]
	v_add_f64 v[126:127], v[130:131], v[126:127]
	v_add_f64 v[124:125], v[136:137], v[124:125]
	v_fma_f64 v[130:131], v[39:40], s[16:17], -v[146:147]
	v_mul_f64 v[136:137], v[91:92], s[52:53]
	v_add_f64 v[132:133], v[132:133], v[117:118]
	v_fma_f64 v[138:139], v[51:52], s[24:25], -v[140:141]
	v_fma_f64 v[140:141], v[37:38], s[16:17], v[134:135]
	v_add_f64 v[128:129], v[128:129], v[119:120]
	v_fma_f64 v[142:143], v[41:42], s[34:35], v[142:143]
	v_mul_f64 v[148:149], v[89:90], s[52:53]
	v_add_f64 v[117:118], v[130:131], v[126:127]
	v_fma_f64 v[126:127], v[85:86], s[12:13], -v[136:137]
	v_mul_f64 v[130:131], v[87:88], s[38:39]
	v_add_f64 v[132:133], v[138:139], v[132:133]
	v_fma_f64 v[138:139], v[45:46], s[34:35], -v[144:145]
	v_add_f64 v[119:120], v[140:141], v[124:125]
	v_add_f64 v[124:125], v[142:143], v[128:129]
	v_fma_f64 v[128:129], v[81:82], s[12:13], v[148:149]
	v_mul_f64 v[140:141], v[83:84], s[38:39]
	v_add_f64 v[115:116], v[126:127], v[115:116]
	v_fma_f64 v[126:127], v[77:78], s[34:35], -v[130:131]
	v_mul_f64 v[142:143], v[79:80], s[42:43]
	v_add_f64 v[132:133], v[138:139], v[132:133]
	v_fma_f64 v[138:139], v[39:40], s[16:17], v[146:147]
	v_fma_f64 v[134:135], v[37:38], s[16:17], -v[134:135]
	v_add_f64 v[128:129], v[128:129], v[113:114]
	v_fma_f64 v[144:145], v[73:74], s[34:35], v[140:141]
	v_mul_f64 v[146:147], v[75:76], s[42:43]
	v_add_f64 v[126:127], v[126:127], v[115:116]
	v_fma_f64 v[150:151], v[69:70], s[44:45], -v[142:143]
	v_mul_f64 v[152:153], v[71:72], s[64:65]
	v_add_f64 v[113:114], v[138:139], v[124:125]
	v_add_f64 v[115:116], v[134:135], v[132:133]
	v_fma_f64 v[124:125], v[85:86], s[12:13], v[136:137]
	v_add_f64 v[128:129], v[144:145], v[128:129]
	v_fma_f64 v[132:133], v[67:68], s[44:45], v[146:147]
	v_mul_f64 v[134:135], v[65:66], s[64:65]
	v_add_f64 v[126:127], v[150:151], v[126:127]
	v_fma_f64 v[136:137], v[59:60], s[24:25], -v[152:153]
	v_mul_f64 v[138:139], v[63:64], s[28:29]
	v_fma_f64 v[144:145], v[81:82], s[12:13], -v[148:149]
	v_add_f64 v[111:112], v[124:125], v[111:112]
	v_fma_f64 v[124:125], v[77:78], s[34:35], v[130:131]
	v_add_f64 v[128:129], v[132:133], v[128:129]
	v_fma_f64 v[130:131], v[61:62], s[24:25], v[134:135]
	v_mul_f64 v[132:133], v[57:58], s[28:29]
	v_add_f64 v[126:127], v[136:137], v[126:127]
	v_fma_f64 v[136:137], v[49:50], s[36:37], -v[138:139]
	v_add_f64 v[109:110], v[144:145], v[109:110]
	v_fma_f64 v[140:141], v[73:74], s[34:35], -v[140:141]
	v_add_f64 v[111:112], v[124:125], v[111:112]
	v_fma_f64 v[124:125], v[69:70], s[44:45], v[142:143]
	v_add_f64 v[128:129], v[130:131], v[128:129]
	v_fma_f64 v[130:131], v[51:52], s[36:37], v[132:133]
	v_mul_f64 v[142:143], v[55:56], s[40:41]
	v_add_f64 v[126:127], v[136:137], v[126:127]
	v_mul_f64 v[136:137], v[53:54], s[40:41]
	v_add_f64 v[109:110], v[140:141], v[109:110]
	v_fma_f64 v[140:141], v[67:68], s[44:45], -v[146:147]
	v_add_f64 v[111:112], v[124:125], v[111:112]
	v_fma_f64 v[124:125], v[59:60], s[24:25], v[152:153]
	v_add_f64 v[128:129], v[130:131], v[128:129]
	v_fma_f64 v[130:131], v[41:42], s[46:47], -v[142:143]
	v_mul_f64 v[144:145], v[47:48], s[56:57]
	v_fma_f64 v[146:147], v[45:46], s[46:47], v[136:137]
	v_mul_f64 v[148:149], v[43:44], s[56:57]
	v_add_f64 v[109:110], v[140:141], v[109:110]
	v_fma_f64 v[134:135], v[61:62], s[24:25], -v[134:135]
	v_add_f64 v[111:112], v[124:125], v[111:112]
	v_fma_f64 v[124:125], v[49:50], s[36:37], v[138:139]
	v_add_f64 v[126:127], v[130:131], v[126:127]
	v_fma_f64 v[130:131], v[39:40], s[30:31], -v[144:145]
	v_add_f64 v[128:129], v[146:147], v[128:129]
	v_fma_f64 v[138:139], v[37:38], s[30:31], v[148:149]
	v_mul_f64 v[140:141], v[91:92], s[56:57]
	v_add_f64 v[134:135], v[134:135], v[109:110]
	v_fma_f64 v[132:133], v[51:52], s[36:37], -v[132:133]
	v_add_f64 v[124:125], v[124:125], v[111:112]
	v_fma_f64 v[142:143], v[41:42], s[46:47], v[142:143]
	v_add_f64 v[109:110], v[130:131], v[126:127]
	v_mul_f64 v[130:131], v[89:90], s[56:57]
	v_add_f64 v[111:112], v[138:139], v[128:129]
	v_fma_f64 v[126:127], v[85:86], s[30:31], -v[140:141]
	v_mul_f64 v[128:129], v[87:88], s[22:23]
	v_add_f64 v[132:133], v[132:133], v[134:135]
	v_fma_f64 v[134:135], v[45:46], s[46:47], -v[136:137]
	v_add_f64 v[124:125], v[142:143], v[124:125]
	v_fma_f64 v[136:137], v[39:40], s[30:31], v[144:145]
	v_fma_f64 v[138:139], v[81:82], s[30:31], v[130:131]
	v_mul_f64 v[142:143], v[83:84], s[22:23]
	v_add_f64 v[107:108], v[126:127], v[107:108]
	v_fma_f64 v[126:127], v[77:78], s[24:25], -v[128:129]
	v_mul_f64 v[144:145], v[79:80], s[62:63]
	v_add_f64 v[132:133], v[134:135], v[132:133]
	v_fma_f64 v[134:135], v[37:38], s[30:31], -v[148:149]
	v_add_f64 v[124:125], v[136:137], v[124:125]
	v_add_f64 v[105:106], v[138:139], v[105:106]
	v_fma_f64 v[136:137], v[73:74], s[24:25], v[142:143]
	v_mul_f64 v[138:139], v[75:76], s[62:63]
	v_fma_f64 v[140:141], v[85:86], s[30:31], v[140:141]
	v_fma_f64 v[130:131], v[81:82], s[30:31], -v[130:131]
	v_add_f64 v[107:108], v[126:127], v[107:108]
	v_fma_f64 v[146:147], v[69:70], s[16:17], -v[144:145]
	v_mul_f64 v[148:149], v[71:72], s[38:39]
	v_add_f64 v[126:127], v[134:135], v[132:133]
	v_add_f64 v[105:106], v[136:137], v[105:106]
	v_fma_f64 v[132:133], v[67:68], s[16:17], v[138:139]
	v_mul_f64 v[134:135], v[65:66], s[38:39]
	v_add_f64 v[103:104], v[140:141], v[103:104]
	v_fma_f64 v[128:129], v[77:78], s[24:25], v[128:129]
	v_add_f64 v[101:102], v[130:131], v[101:102]
	v_fma_f64 v[130:131], v[73:74], s[24:25], -v[142:143]
	v_add_f64 v[107:108], v[146:147], v[107:108]
	v_fma_f64 v[136:137], v[59:60], s[34:35], -v[148:149]
	v_add_f64 v[105:106], v[132:133], v[105:106]
	v_fma_f64 v[132:133], v[61:62], s[34:35], v[134:135]
	v_mul_f64 v[140:141], v[63:64], s[40:41]
	v_add_f64 v[103:104], v[128:129], v[103:104]
	v_fma_f64 v[128:129], v[69:70], s[16:17], v[144:145]
	v_add_f64 v[101:102], v[130:131], v[101:102]
	v_fma_f64 v[130:131], v[67:68], s[16:17], -v[138:139]
	v_mul_f64 v[142:143], v[57:58], s[40:41]
	v_add_f64 v[107:108], v[136:137], v[107:108]
	v_add_f64 v[105:106], v[132:133], v[105:106]
	v_fma_f64 v[132:133], v[49:50], s[46:47], -v[140:141]
	v_mul_f64 v[138:139], v[55:56], s[60:61]
	v_add_f64 v[103:104], v[128:129], v[103:104]
	v_fma_f64 v[128:129], v[59:60], s[34:35], v[148:149]
	v_add_f64 v[101:102], v[130:131], v[101:102]
	v_fma_f64 v[130:131], v[61:62], s[34:35], -v[134:135]
	v_mul_f64 v[91:92], v[91:92], s[58:59]
	v_mul_f64 v[89:90], v[89:90], s[58:59]
	v_add_f64 v[107:108], v[132:133], v[107:108]
	v_fma_f64 v[132:133], v[41:42], s[36:37], -v[138:139]
	v_mul_f64 v[87:88], v[87:88], s[42:43]
	v_add_f64 v[103:104], v[128:129], v[103:104]
	v_fma_f64 v[128:129], v[49:50], s[46:47], v[140:141]
	v_add_f64 v[101:102], v[130:131], v[101:102]
	v_fma_f64 v[130:131], v[51:52], s[46:47], -v[142:143]
	v_mul_f64 v[83:84], v[83:84], s[42:43]
	v_mul_f64 v[79:80], v[79:80], s[60:61]
	v_add_f64 v[107:108], v[132:133], v[107:108]
	v_fma_f64 v[132:133], v[85:86], s[34:35], -v[91:92]
	v_fma_f64 v[85:86], v[85:86], s[34:35], v[91:92]
	v_add_f64 v[103:104], v[128:129], v[103:104]
	v_fma_f64 v[128:129], v[41:42], s[36:37], v[138:139]
	v_add_f64 v[101:102], v[130:131], v[101:102]
	v_fma_f64 v[130:131], v[81:82], s[34:35], v[89:90]
	v_fma_f64 v[81:82], v[81:82], s[34:35], -v[89:90]
	v_mul_f64 v[75:76], v[75:76], s[60:61]
	v_add_f64 v[99:100], v[132:133], v[99:100]
	v_fma_f64 v[132:133], v[77:78], s[44:45], -v[87:88]
	v_add_f64 v[85:86], v[85:86], v[97:98]
	v_add_f64 v[91:92], v[128:129], v[103:104]
	v_fma_f64 v[128:129], v[73:74], s[44:45], v[83:84]
	v_add_f64 v[95:96], v[130:131], v[95:96]
	v_fma_f64 v[77:78], v[77:78], s[44:45], v[87:88]
	v_add_f64 v[81:82], v[81:82], v[93:94]
	v_fma_f64 v[73:74], v[73:74], s[44:45], -v[83:84]
	v_add_f64 v[89:90], v[132:133], v[99:100]
	v_fma_f64 v[97:98], v[69:70], s[36:37], -v[79:80]
	v_mul_f64 v[71:72], v[71:72], s[20:21]
	v_fma_f64 v[69:70], v[69:70], s[36:37], v[79:80]
	v_add_f64 v[95:96], v[128:129], v[95:96]
	v_add_f64 v[77:78], v[77:78], v[85:86]
	v_fma_f64 v[85:86], v[67:68], s[36:37], v[75:76]
	v_mul_f64 v[65:66], v[65:66], s[20:21]
	v_add_f64 v[73:74], v[73:74], v[81:82]
	v_fma_f64 v[67:68], v[67:68], s[36:37], -v[75:76]
	v_add_f64 v[89:90], v[97:98], v[89:90]
	v_mul_f64 v[63:64], v[63:64], s[56:57]
	v_mul_f64 v[57:58], v[57:58], s[56:57]
	v_add_f64 v[69:70], v[69:70], v[77:78]
	v_add_f64 v[81:82], v[85:86], v[95:96]
	v_fma_f64 v[85:86], v[59:60], s[16:17], -v[71:72]
	v_fma_f64 v[77:78], v[61:62], s[16:17], v[65:66]
	v_add_f64 v[67:68], v[67:68], v[73:74]
	v_fma_f64 v[59:60], v[59:60], s[16:17], v[71:72]
	v_fma_f64 v[61:62], v[61:62], s[16:17], -v[65:66]
	v_fma_f64 v[136:137], v[51:52], s[46:47], v[142:143]
	v_mul_f64 v[144:145], v[53:54], s[60:61]
	v_mul_f64 v[55:56], v[55:56], s[18:19]
	v_add_f64 v[65:66], v[85:86], v[89:90]
	v_add_f64 v[71:72], v[77:78], v[81:82]
	v_fma_f64 v[77:78], v[49:50], s[30:31], -v[63:64]
	v_fma_f64 v[81:82], v[51:52], s[30:31], v[57:58]
	v_mul_f64 v[53:54], v[53:54], s[18:19]
	v_add_f64 v[59:60], v[59:60], v[69:70]
	v_add_f64 v[61:62], v[61:62], v[67:68]
	v_fma_f64 v[49:50], v[49:50], s[30:31], v[63:64]
	v_fma_f64 v[51:52], v[51:52], s[30:31], -v[57:58]
	v_mul_f64 v[83:84], v[47:48], s[18:19]
	v_add_f64 v[105:106], v[136:137], v[105:106]
	v_fma_f64 v[134:135], v[45:46], s[36:37], v[144:145]
	v_mul_f64 v[75:76], v[43:44], s[18:19]
	v_fma_f64 v[103:104], v[45:46], s[36:37], -v[144:145]
	v_add_f64 v[57:58], v[77:78], v[65:66]
	v_add_f64 v[63:64], v[81:82], v[71:72]
	v_fma_f64 v[65:66], v[41:42], s[12:13], -v[55:56]
	v_fma_f64 v[67:68], v[45:46], s[12:13], v[53:54]
	v_mul_f64 v[47:48], v[47:48], s[64:65]
	v_mul_f64 v[43:44], v[43:44], s[64:65]
	v_add_f64 v[49:50], v[49:50], v[59:60]
	v_add_f64 v[51:52], v[51:52], v[61:62]
	v_fma_f64 v[41:42], v[41:42], s[12:13], v[55:56]
	v_fma_f64 v[45:46], v[45:46], s[12:13], -v[53:54]
	v_fma_f64 v[53:54], v[39:40], s[12:13], v[83:84]
	v_add_f64 v[105:106], v[134:135], v[105:106]
	v_fma_f64 v[79:80], v[39:40], s[12:13], -v[83:84]
	v_fma_f64 v[73:74], v[37:38], s[12:13], v[75:76]
	v_add_f64 v[87:88], v[103:104], v[101:102]
	v_fma_f64 v[55:56], v[37:38], s[12:13], -v[75:76]
	v_add_f64 v[57:58], v[65:66], v[57:58]
	v_add_f64 v[59:60], v[67:68], v[63:64]
	v_fma_f64 v[61:62], v[39:40], s[24:25], -v[47:48]
	v_fma_f64 v[63:64], v[37:38], s[24:25], v[43:44]
	v_add_f64 v[49:50], v[41:42], v[49:50]
	v_add_f64 v[51:52], v[45:46], v[51:52]
	v_fma_f64 v[65:66], v[39:40], s[24:25], v[47:48]
	v_fma_f64 v[67:68], v[37:38], s[24:25], -v[43:44]
	v_add_f64 v[41:42], v[53:54], v[91:92]
	v_mul_u32_u24_e32 v53, 0x770, v122
	v_add_f64 v[37:38], v[79:80], v[107:108]
	v_add_f64 v[39:40], v[73:74], v[105:106]
	v_add3_u32 v53, 0, v53, v123
	v_add_f64 v[43:44], v[55:56], v[87:88]
	v_add_f64 v[45:46], v[61:62], v[57:58]
	;; [unrolled: 1-line block ×5, first 2 shown]
	s_barrier
	ds_write_b128 v53, v[5:8]
	ds_write_b128 v53, v[1:4] offset:112
	ds_write_b128 v53, v[17:20] offset:224
	;; [unrolled: 1-line block ×11, first 2 shown]
	v_add_u32_e32 v1, s66, v179
	v_cmp_gt_u32_e32 vcc, s10, v1
	s_mov_b32 s7, 0
	s_or_b64 s[10:11], s[48:49], vcc
	ds_write_b128 v53, v[113:116] offset:1344
	ds_write_b128 v53, v[29:32] offset:1456
	;; [unrolled: 1-line block ×5, first 2 shown]
	s_waitcnt lgkmcnt(0)
	s_barrier
	s_and_saveexec_b64 s[48:49], s[10:11]
	s_cbranch_execz .LBB0_12
; %bb.11:
	s_mov_b32 s3, 0xf0f0f10
	v_mul_hi_u32 v1, v122, s3
	s_load_dwordx2 s[10:11], s[4:5], 0x0
	s_mul_i32 s3, s1, s66
	s_load_dwordx2 s[4:5], s[4:5], 0x60
	v_mul_u32_u24_e32 v1, 17, v1
	v_sub_u32_e32 v180, v122, v1
	v_lshlrev_b32_e32 v1, 8, v180
	s_waitcnt lgkmcnt(0)
	global_load_dwordx4 v[5:8], v1, s[10:11] offset:112
	global_load_dwordx4 v[9:12], v1, s[10:11] offset:128
	;; [unrolled: 1-line block ×14, first 2 shown]
	global_load_dwordx4 v[65:68], v1, s[10:11]
	global_load_dwordx4 v[77:80], v1, s[10:11] offset:240
	ds_read_b128 v[61:64], v121 offset:15232
	ds_read_b128 v[81:84], v121 offset:17136
	;; [unrolled: 1-line block ×14, first 2 shown]
	ds_read_b128 v[1:4], v121
	ds_read_b128 v[147:150], v121 offset:1904
	ds_read_b128 v[121:124], v121 offset:30464
	s_mul_hi_u32 s11, s0, s66
	s_mul_i32 s10, s0, s66
	s_mul_i32 s6, s6, s14
	;; [unrolled: 1-line block ×3, first 2 shown]
	s_mul_hi_u32 s14, s8, s33
	s_add_i32 s11, s11, s3
	s_add_i32 s9, s14, s9
	s_mul_i32 s8, s8, s33
	s_waitcnt vmcnt(15) lgkmcnt(14)
	v_mul_f64 v[49:50], v[61:62], v[7:8]
	s_waitcnt vmcnt(14)
	v_mul_f64 v[55:56], v[81:82], v[11:12]
	v_mul_f64 v[7:8], v[63:64], v[7:8]
	s_waitcnt vmcnt(12) lgkmcnt(12)
	v_mul_f64 v[75:76], v[101:102], v[19:20]
	v_mul_f64 v[19:20], v[103:104], v[19:20]
	s_waitcnt vmcnt(11)
	v_mul_f64 v[145:146], v[97:98], v[23:24]
	v_mul_f64 v[11:12], v[83:84], v[11:12]
	s_waitcnt vmcnt(8) lgkmcnt(8)
	v_mul_f64 v[155:156], v[117:118], v[35:36]
	v_mul_f64 v[35:36], v[119:120], v[35:36]
	s_waitcnt vmcnt(6) lgkmcnt(7)
	v_mul_f64 v[159:160], v[125:126], v[43:44]
	v_mul_f64 v[157:158], v[113:114], v[39:40]
	s_waitcnt vmcnt(4) lgkmcnt(4)
	v_mul_f64 v[163:164], v[137:138], v[53:54]
	v_mul_f64 v[165:166], v[139:140], v[53:54]
	s_waitcnt vmcnt(3)
	v_mul_f64 v[167:168], v[129:130], v[59:60]
	v_mul_f64 v[171:172], v[131:132], v[59:60]
	s_waitcnt vmcnt(1) lgkmcnt(1)
	v_mul_f64 v[53:54], v[147:148], v[67:68]
	s_waitcnt vmcnt(0) lgkmcnt(0)
	v_mul_f64 v[59:60], v[121:122], v[79:80]
	v_mul_f64 v[169:170], v[141:142], v[73:74]
	v_mul_f64 v[173:174], v[143:144], v[73:74]
	v_mul_f64 v[175:176], v[149:150], v[67:68]
	v_mul_f64 v[177:178], v[123:124], v[79:80]
	v_fma_f64 v[73:74], v[101:102], v[17:18], -v[19:20]
	v_fma_f64 v[101:102], v[99:100], v[21:22], v[145:146]
	v_fma_f64 v[145:146], v[149:150], v[65:66], v[53:54]
	;; [unrolled: 1-line block ×3, first 2 shown]
	v_mul_f64 v[39:40], v[115:116], v[39:40]
	v_mul_f64 v[43:44], v[127:128], v[43:44]
	;; [unrolled: 1-line block ×3, first 2 shown]
	v_fma_f64 v[89:90], v[63:64], v[5:6], v[49:50]
	v_fma_f64 v[85:86], v[83:84], v[9:10], v[55:56]
	;; [unrolled: 1-line block ×5, first 2 shown]
	v_fma_f64 v[131:132], v[147:148], v[65:66], -v[175:176]
	v_fma_f64 v[55:56], v[121:122], v[77:78], -v[177:178]
	v_add_f64 v[177:178], v[145:146], v[53:54]
	v_mul_f64 v[153:154], v[109:110], v[31:32]
	v_mul_f64 v[47:48], v[135:136], v[47:48]
	v_fma_f64 v[87:88], v[61:62], v[5:6], -v[7:8]
	v_fma_f64 v[61:62], v[117:118], v[33:34], -v[35:36]
	;; [unrolled: 1-line block ×3, first 2 shown]
	v_fma_f64 v[123:124], v[135:136], v[45:46], v[161:162]
	v_fma_f64 v[65:66], v[139:140], v[51:52], v[163:164]
	v_fma_f64 v[129:130], v[129:130], v[57:58], -v[171:172]
	v_fma_f64 v[57:58], v[141:142], v[71:72], -v[173:174]
	v_add_f64 v[175:176], v[127:128], v[59:60]
	v_add_f64 v[113:114], v[131:132], -v[55:56]
	v_mul_f64 v[5:6], v[177:178], s[46:47]
	v_mul_f64 v[69:70], v[91:92], v[15:16]
	;; [unrolled: 1-line block ×6, first 2 shown]
	v_fma_f64 v[79:80], v[81:82], v[9:10], -v[11:12]
	v_fma_f64 v[49:50], v[111:112], v[29:30], v[153:154]
	v_fma_f64 v[115:116], v[115:116], v[37:38], v[157:158]
	v_fma_f64 v[77:78], v[125:126], v[41:42], -v[43:44]
	v_fma_f64 v[125:126], v[133:134], v[45:46], -v[47:48]
	;; [unrolled: 1-line block ×3, first 2 shown]
	v_add_f64 v[173:174], v[123:124], v[65:66]
	v_add_f64 v[111:112], v[129:130], -v[57:58]
	v_mul_f64 v[7:8], v[175:176], s[34:35]
	v_fma_f64 v[9:10], v[113:114], s[54:55], v[5:6]
	v_fma_f64 v[95:96], v[93:94], v[13:14], v[69:70]
	v_fma_f64 v[93:94], v[91:92], v[13:14], -v[15:16]
	v_fma_f64 v[67:68], v[105:106], v[25:26], -v[27:28]
	v_fma_f64 v[69:70], v[119:120], v[33:34], v[155:156]
	v_fma_f64 v[105:106], v[109:110], v[29:30], -v[31:32]
	v_add_f64 v[171:172], v[115:116], v[63:64]
	v_add_f64 v[109:110], v[125:126], -v[71:72]
	v_mul_f64 v[11:12], v[173:174], s[44:45]
	v_fma_f64 v[13:14], v[111:112], s[38:39], v[7:8]
	v_add_f64 v[9:10], v[3:4], v[9:10]
	v_fma_f64 v[81:82], v[103:104], v[17:18], v[75:76]
	v_fma_f64 v[75:76], v[107:108], v[25:26], v[151:152]
	v_add_f64 v[161:162], v[49:50], v[69:70]
	v_add_f64 v[107:108], v[117:118], -v[77:78]
	v_mul_f64 v[15:16], v[171:172], s[36:37]
	v_fma_f64 v[17:18], v[109:110], s[50:51], v[11:12]
	v_mul_f64 v[23:24], v[99:100], v[23:24]
	v_add_f64 v[9:10], v[13:14], v[9:10]
	v_add_f64 v[103:104], v[105:106], -v[61:62]
	v_add_f64 v[159:160], v[145:146], -v[53:54]
	v_mul_f64 v[13:14], v[161:162], s[16:17]
	v_add_f64 v[147:148], v[101:102], v[75:76]
	v_fma_f64 v[19:20], v[107:108], s[28:29], v[15:16]
	v_add_f64 v[157:158], v[127:128], -v[59:60]
	v_fma_f64 v[99:100], v[97:98], v[21:22], -v[23:24]
	v_add_f64 v[9:10], v[17:18], v[9:10]
	v_add_f64 v[151:152], v[131:132], v[55:56]
	;; [unrolled: 1-line block ×3, first 2 shown]
	v_fma_f64 v[21:22], v[103:104], s[62:63], v[13:14]
	v_mul_f64 v[17:18], v[147:148], s[30:31]
	v_add_f64 v[155:156], v[123:124], -v[65:66]
	v_add_f64 v[149:150], v[129:130], v[57:58]
	v_add_f64 v[97:98], v[99:100], -v[67:68]
	v_add_f64 v[9:10], v[19:20], v[9:10]
	v_mul_f64 v[19:20], v[159:160], s[40:41]
	v_mul_f64 v[27:28], v[157:158], s[58:59]
	v_add_f64 v[91:92], v[93:94], -v[73:74]
	v_add_f64 v[153:154], v[115:116], -v[63:64]
	v_add_f64 v[141:142], v[125:126], v[71:72]
	v_mul_f64 v[25:26], v[133:134], s[12:13]
	v_fma_f64 v[29:30], v[97:98], s[26:27], v[17:18]
	v_add_f64 v[9:10], v[21:22], v[9:10]
	v_fma_f64 v[21:22], v[151:152], s[46:47], v[19:20]
	v_fma_f64 v[19:20], v[151:152], s[46:47], -v[19:20]
	v_fma_f64 v[5:6], v[113:114], s[40:41], v[5:6]
	v_mul_f64 v[33:34], v[155:156], s[42:43]
	v_fma_f64 v[37:38], v[149:150], s[34:35], v[27:28]
	v_fma_f64 v[27:28], v[149:150], s[34:35], -v[27:28]
	v_add_f64 v[143:144], v[49:50], -v[69:70]
	v_add_f64 v[119:120], v[117:118], v[77:78]
	v_mul_f64 v[31:32], v[153:154], s[60:61]
	v_add_f64 v[19:20], v[1:2], v[19:20]
	v_fma_f64 v[35:36], v[91:92], s[52:53], v[25:26]
	v_add_f64 v[9:10], v[29:30], v[9:10]
	v_fma_f64 v[7:8], v[111:112], s[58:59], v[7:8]
	v_add_f64 v[5:6], v[3:4], v[5:6]
	v_fma_f64 v[39:40], v[141:142], s[44:45], v[33:34]
	v_fma_f64 v[33:34], v[141:142], s[44:45], -v[33:34]
	v_add_f64 v[139:140], v[101:102], -v[75:76]
	v_add_f64 v[19:20], v[27:28], v[19:20]
	v_fma_f64 v[11:12], v[109:110], s[42:43], v[11:12]
	v_add_f64 v[9:10], v[35:36], v[9:10]
	v_add_f64 v[169:170], v[105:106], v[61:62]
	;; [unrolled: 1-line block ×3, first 2 shown]
	v_mul_f64 v[7:8], v[143:144], s[20:21]
	v_fma_f64 v[35:36], v[119:120], s[36:37], v[31:32]
	v_fma_f64 v[31:32], v[119:120], s[36:37], -v[31:32]
	v_add_f64 v[19:20], v[33:34], v[19:20]
	v_add_f64 v[121:122], v[89:90], v[85:86]
	;; [unrolled: 1-line block ×5, first 2 shown]
	v_mul_f64 v[11:12], v[139:140], s[56:57]
	v_fma_f64 v[27:28], v[169:170], s[16:17], v[7:8]
	v_fma_f64 v[7:8], v[169:170], s[16:17], -v[7:8]
	v_add_f64 v[19:20], v[31:32], v[19:20]
	v_add_f64 v[83:84], v[87:88], -v[79:80]
	v_mul_f64 v[23:24], v[121:122], s[24:25]
	v_add_f64 v[21:22], v[37:38], v[21:22]
	v_add_f64 v[137:138], v[95:96], -v[81:82]
	v_fma_f64 v[33:34], v[167:168], s[30:31], v[11:12]
	v_fma_f64 v[11:12], v[167:168], s[30:31], -v[11:12]
	v_fma_f64 v[15:16], v[107:108], s[60:61], v[15:16]
	v_add_f64 v[19:20], v[7:8], v[19:20]
	v_mul_f64 v[31:32], v[175:176], s[30:31]
	v_fma_f64 v[29:30], v[83:84], s[22:23], v[23:24]
	v_add_f64 v[21:22], v[39:40], v[21:22]
	v_fma_f64 v[13:14], v[103:104], s[20:21], v[13:14]
	v_add_f64 v[165:166], v[93:94], v[73:74]
	v_mul_f64 v[39:40], v[173:174], s[24:25]
	v_add_f64 v[5:6], v[15:16], v[5:6]
	v_add_f64 v[11:12], v[11:12], v[19:20]
	v_fma_f64 v[19:20], v[83:84], s[64:65], v[23:24]
	v_mul_f64 v[23:24], v[177:178], s[44:45]
	v_add_f64 v[21:22], v[35:36], v[21:22]
	v_add_f64 v[7:8], v[29:30], v[9:10]
	v_mul_f64 v[29:30], v[159:160], s[42:43]
	v_mul_f64 v[15:16], v[137:138], s[18:19]
	;; [unrolled: 1-line block ×3, first 2 shown]
	v_fma_f64 v[47:48], v[111:112], s[26:27], v[31:32]
	v_fma_f64 v[17:18], v[97:98], s[56:57], v[17:18]
	;; [unrolled: 1-line block ×4, first 2 shown]
	v_add_f64 v[21:22], v[27:28], v[21:22]
	v_fma_f64 v[45:46], v[151:152], s[44:45], v[29:30]
	v_add_f64 v[5:6], v[13:14], v[5:6]
	v_fma_f64 v[27:28], v[165:166], s[12:13], v[15:16]
	v_fma_f64 v[15:16], v[165:166], s[12:13], -v[15:16]
	v_mul_f64 v[51:52], v[171:172], s[16:17]
	v_add_f64 v[35:36], v[3:4], v[35:36]
	v_fma_f64 v[181:182], v[109:110], s[64:65], v[39:40]
	v_mul_f64 v[183:184], v[155:156], s[22:23]
	v_fma_f64 v[185:186], v[149:150], s[30:31], v[43:44]
	v_add_f64 v[45:46], v[1:2], v[45:46]
	v_fma_f64 v[31:32], v[111:112], s[56:57], v[31:32]
	v_add_f64 v[23:24], v[3:4], v[23:24]
	v_fma_f64 v[29:30], v[151:152], s[44:45], -v[29:30]
	v_add_f64 v[35:36], v[47:48], v[35:36]
	v_add_f64 v[21:22], v[33:34], v[21:22]
	v_fma_f64 v[25:26], v[91:92], s[18:19], v[25:26]
	v_add_f64 v[5:6], v[17:18], v[5:6]
	v_add_f64 v[11:12], v[15:16], v[11:12]
	v_mul_f64 v[15:16], v[161:162], s[34:35]
	v_fma_f64 v[47:48], v[107:108], s[20:21], v[51:52]
	v_mul_f64 v[187:188], v[153:154], s[62:63]
	v_fma_f64 v[189:190], v[141:142], s[24:25], v[183:184]
	v_add_f64 v[45:46], v[185:186], v[45:46]
	v_fma_f64 v[39:40], v[109:110], s[22:23], v[39:40]
	v_add_f64 v[23:24], v[31:32], v[23:24]
	v_add_f64 v[31:32], v[181:182], v[35:36]
	v_fma_f64 v[43:44], v[149:150], s[30:31], -v[43:44]
	v_add_f64 v[29:30], v[1:2], v[29:30]
	v_add_f64 v[17:18], v[27:28], v[21:22]
	v_add_f64 v[21:22], v[25:26], v[5:6]
	v_mul_f64 v[25:26], v[147:148], s[46:47]
	v_fma_f64 v[41:42], v[103:104], s[58:59], v[15:16]
	v_mul_f64 v[35:36], v[143:144], s[38:39]
	v_fma_f64 v[181:182], v[119:120], s[16:17], v[187:188]
	v_add_f64 v[45:46], v[189:190], v[45:46]
	v_fma_f64 v[51:52], v[107:108], s[62:63], v[51:52]
	v_add_f64 v[23:24], v[39:40], v[23:24]
	v_add_f64 v[31:32], v[47:48], v[31:32]
	v_fma_f64 v[183:184], v[141:142], s[24:25], -v[183:184]
	v_add_f64 v[29:30], v[43:44], v[29:30]
	v_add_f64 v[135:136], v[89:90], -v[85:86]
	v_mul_f64 v[5:6], v[133:134], s[36:37]
	v_fma_f64 v[37:38], v[97:98], s[54:55], v[25:26]
	v_mul_f64 v[39:40], v[139:140], s[40:41]
	v_fma_f64 v[47:48], v[169:170], s[34:35], v[35:36]
	v_add_f64 v[43:44], v[181:182], v[45:46]
	v_fma_f64 v[15:16], v[103:104], s[38:39], v[15:16]
	v_add_f64 v[23:24], v[51:52], v[23:24]
	v_add_f64 v[31:32], v[41:42], v[31:32]
	v_fma_f64 v[51:52], v[119:120], s[16:17], -v[187:188]
	v_add_f64 v[29:30], v[183:184], v[29:30]
	v_add_f64 v[163:164], v[87:88], v[79:80]
	v_mul_f64 v[13:14], v[135:136], s[64:65]
	v_mul_f64 v[27:28], v[121:122], s[12:13]
	v_fma_f64 v[33:34], v[91:92], s[28:29], v[5:6]
	v_mul_f64 v[41:42], v[137:138], s[60:61]
	v_fma_f64 v[45:46], v[167:168], s[46:47], v[39:40]
	v_add_f64 v[43:44], v[47:48], v[43:44]
	v_fma_f64 v[25:26], v[97:98], s[40:41], v[25:26]
	v_add_f64 v[15:16], v[15:16], v[23:24]
	v_add_f64 v[23:24], v[37:38], v[31:32]
	v_fma_f64 v[35:36], v[169:170], s[34:35], -v[35:36]
	v_add_f64 v[29:30], v[51:52], v[29:30]
	v_fma_f64 v[9:10], v[163:164], s[24:25], v[13:14]
	v_fma_f64 v[13:14], v[163:164], s[24:25], -v[13:14]
	v_mul_f64 v[31:32], v[135:136], s[18:19]
	v_fma_f64 v[37:38], v[165:166], s[36:37], v[41:42]
	v_add_f64 v[43:44], v[45:46], v[43:44]
	v_fma_f64 v[5:6], v[91:92], s[60:61], v[5:6]
	v_add_f64 v[15:16], v[25:26], v[15:16]
	;; [unrolled: 2-line block ×3, first 2 shown]
	v_fma_f64 v[39:40], v[167:168], s[46:47], -v[39:40]
	v_add_f64 v[29:30], v[35:36], v[29:30]
	v_fma_f64 v[33:34], v[163:164], s[12:13], v[31:32]
	v_add_f64 v[35:36], v[37:38], v[43:44]
	v_add_f64 v[13:14], v[13:14], v[11:12]
	;; [unrolled: 1-line block ×5, first 2 shown]
	v_fma_f64 v[17:18], v[165:166], s[36:37], -v[41:42]
	v_add_f64 v[21:22], v[39:40], v[29:30]
	v_add_f64 v[11:12], v[25:26], v[23:24]
	v_mul_f64 v[23:24], v[177:178], s[16:17]
	v_add_f64 v[9:10], v[33:34], v[35:36]
	v_mul_f64 v[33:34], v[175:176], s[12:13]
	v_mul_f64 v[43:44], v[157:158], s[52:53]
	;; [unrolled: 1-line block ×4, first 2 shown]
	v_add_f64 v[17:18], v[17:18], v[21:22]
	v_mul_f64 v[21:22], v[159:160], s[20:21]
	v_fma_f64 v[35:36], v[113:114], s[62:63], v[23:24]
	v_mul_f64 v[185:186], v[155:156], s[38:39]
	v_fma_f64 v[51:52], v[111:112], s[18:19], v[33:34]
	v_fma_f64 v[187:188], v[149:150], s[12:13], v[43:44]
	;; [unrolled: 1-line block ×4, first 2 shown]
	v_mul_f64 v[39:40], v[161:162], s[24:25]
	v_fma_f64 v[45:46], v[151:152], s[16:17], v[21:22]
	v_add_f64 v[35:36], v[3:4], v[35:36]
	v_mul_f64 v[191:192], v[153:154], s[42:43]
	v_fma_f64 v[193:194], v[141:142], s[34:35], v[185:186]
	v_fma_f64 v[21:22], v[151:152], s[16:17], -v[21:22]
	v_fma_f64 v[33:34], v[111:112], s[52:53], v[33:34]
	v_add_f64 v[23:24], v[3:4], v[23:24]
	v_mul_f64 v[29:30], v[147:148], s[36:37]
	v_add_f64 v[45:46], v[1:2], v[45:46]
	v_add_f64 v[35:36], v[51:52], v[35:36]
	v_fma_f64 v[51:52], v[107:108], s[50:51], v[181:182]
	v_fma_f64 v[183:184], v[103:104], s[22:23], v[39:40]
	v_fma_f64 v[43:44], v[149:150], s[12:13], -v[43:44]
	v_add_f64 v[21:22], v[1:2], v[21:22]
	v_fma_f64 v[47:48], v[109:110], s[38:39], v[47:48]
	v_add_f64 v[23:24], v[33:34], v[23:24]
	v_add_f64 v[45:46], v[187:188], v[45:46]
	;; [unrolled: 1-line block ×3, first 2 shown]
	v_mul_f64 v[187:188], v[143:144], s[64:65]
	v_fma_f64 v[189:190], v[119:120], s[44:45], v[191:192]
	v_fma_f64 v[27:28], v[83:84], s[18:19], v[27:28]
	v_mul_f64 v[25:26], v[133:134], s[46:47]
	v_fma_f64 v[41:42], v[97:98], s[60:61], v[29:30]
	v_fma_f64 v[185:186], v[141:142], s[34:35], -v[185:186]
	v_add_f64 v[45:46], v[193:194], v[45:46]
	v_add_f64 v[33:34], v[51:52], v[35:36]
	v_mul_f64 v[35:36], v[139:140], s[28:29]
	v_fma_f64 v[51:52], v[169:170], s[24:25], v[187:188]
	v_add_f64 v[21:22], v[43:44], v[21:22]
	v_add_f64 v[23:24], v[47:48], v[23:24]
	;; [unrolled: 1-line block ×3, first 2 shown]
	v_fma_f64 v[27:28], v[163:164], s[12:13], -v[31:32]
	v_add_f64 v[43:44], v[189:190], v[45:46]
	v_fma_f64 v[45:46], v[107:108], s[42:43], v[181:182]
	v_add_f64 v[33:34], v[183:184], v[33:34]
	v_mul_f64 v[31:32], v[121:122], s[30:31]
	v_fma_f64 v[37:38], v[91:92], s[54:55], v[25:26]
	v_mul_f64 v[47:48], v[137:138], s[40:41]
	v_fma_f64 v[181:182], v[167:168], s[36:37], v[35:36]
	v_fma_f64 v[183:184], v[119:120], s[44:45], -v[191:192]
	v_add_f64 v[21:22], v[185:186], v[21:22]
	v_add_f64 v[43:44], v[51:52], v[43:44]
	v_fma_f64 v[39:40], v[103:104], s[64:65], v[39:40]
	v_add_f64 v[23:24], v[45:46], v[23:24]
	v_add_f64 v[33:34], v[41:42], v[33:34]
	v_mul_f64 v[41:42], v[135:136], s[56:57]
	v_fma_f64 v[45:46], v[165:166], s[46:47], v[47:48]
	v_fma_f64 v[51:52], v[169:170], s[24:25], -v[187:188]
	v_add_f64 v[21:22], v[183:184], v[21:22]
	v_add_f64 v[43:44], v[181:182], v[43:44]
	v_fma_f64 v[29:30], v[97:98], s[28:29], v[29:30]
	v_add_f64 v[23:24], v[39:40], v[23:24]
	v_fma_f64 v[39:40], v[83:84], s[26:27], v[31:32]
	v_add_f64 v[33:34], v[37:38], v[33:34]
	v_fma_f64 v[37:38], v[163:164], s[30:31], v[41:42]
	v_fma_f64 v[35:36], v[167:168], s[36:37], -v[35:36]
	v_add_f64 v[21:22], v[51:52], v[21:22]
	v_add_f64 v[43:44], v[45:46], v[43:44]
	v_fma_f64 v[25:26], v[91:92], s[40:41], v[25:26]
	v_add_f64 v[29:30], v[29:30], v[23:24]
	v_add_f64 v[17:18], v[27:28], v[17:18]
	;; [unrolled: 1-line block ×3, first 2 shown]
	v_mul_f64 v[33:34], v[177:178], s[12:13]
	v_fma_f64 v[27:28], v[165:166], s[46:47], -v[47:48]
	v_add_f64 v[35:36], v[35:36], v[21:22]
	v_add_f64 v[21:22], v[37:38], v[43:44]
	v_mul_f64 v[37:38], v[175:176], s[44:45]
	v_add_f64 v[25:26], v[25:26], v[29:30]
	v_mul_f64 v[29:30], v[159:160], s[18:19]
	v_fma_f64 v[39:40], v[163:164], s[30:31], -v[41:42]
	v_fma_f64 v[41:42], v[113:114], s[52:53], v[33:34]
	v_fma_f64 v[33:34], v[113:114], s[18:19], v[33:34]
	v_add_f64 v[27:28], v[27:28], v[35:36]
	v_mul_f64 v[35:36], v[173:174], s[36:37]
	v_mul_f64 v[45:46], v[157:158], s[50:51]
	v_fma_f64 v[51:52], v[111:112], s[42:43], v[37:38]
	v_fma_f64 v[47:48], v[151:152], s[12:13], v[29:30]
	;; [unrolled: 1-line block ×3, first 2 shown]
	v_add_f64 v[41:42], v[3:4], v[41:42]
	v_add_f64 v[33:34], v[3:4], v[33:34]
	v_mul_f64 v[181:182], v[171:172], s[30:31]
	v_fma_f64 v[183:184], v[109:110], s[28:29], v[35:36]
	v_mul_f64 v[185:186], v[155:156], s[60:61]
	v_fma_f64 v[187:188], v[149:150], s[44:45], v[45:46]
	v_add_f64 v[47:48], v[1:2], v[47:48]
	v_fma_f64 v[35:36], v[109:110], s[60:61], v[35:36]
	v_add_f64 v[41:42], v[51:52], v[41:42]
	v_add_f64 v[33:34], v[37:38], v[33:34]
	v_mul_f64 v[51:52], v[161:162], s[46:47]
	v_fma_f64 v[189:190], v[107:108], s[56:57], v[181:182]
	v_mul_f64 v[191:192], v[153:154], s[26:27]
	v_fma_f64 v[193:194], v[141:142], s[36:37], v[185:186]
	v_add_f64 v[47:48], v[187:188], v[47:48]
	v_fma_f64 v[181:182], v[107:108], s[26:27], v[181:182]
	v_add_f64 v[37:38], v[183:184], v[41:42]
	v_add_f64 v[33:34], v[35:36], v[33:34]
	v_mul_f64 v[41:42], v[147:148], s[24:25]
	v_fma_f64 v[183:184], v[103:104], s[54:55], v[51:52]
	v_mul_f64 v[187:188], v[143:144], s[40:41]
	v_fma_f64 v[195:196], v[119:120], s[30:31], v[191:192]
	v_add_f64 v[47:48], v[193:194], v[47:48]
	v_fma_f64 v[51:52], v[103:104], s[40:41], v[51:52]
	v_add_f64 v[35:36], v[189:190], v[37:38]
	v_add_f64 v[33:34], v[181:182], v[33:34]
	v_mul_f64 v[37:38], v[133:134], s[34:35]
	v_fma_f64 v[189:190], v[97:98], s[22:23], v[41:42]
	v_mul_f64 v[193:194], v[139:140], s[64:65]
	v_fma_f64 v[197:198], v[169:170], s[46:47], v[187:188]
	v_add_f64 v[47:48], v[195:196], v[47:48]
	v_fma_f64 v[29:30], v[151:152], s[12:13], -v[29:30]
	v_add_f64 v[35:36], v[183:184], v[35:36]
	v_fma_f64 v[41:42], v[97:98], s[64:65], v[41:42]
	v_add_f64 v[33:34], v[51:52], v[33:34]
	v_mul_f64 v[43:44], v[121:122], s[16:17]
	v_fma_f64 v[181:182], v[91:92], s[58:59], v[37:38]
	v_mul_f64 v[183:184], v[137:138], s[38:39]
	v_fma_f64 v[195:196], v[167:168], s[24:25], v[193:194]
	v_add_f64 v[47:48], v[197:198], v[47:48]
	v_add_f64 v[35:36], v[189:190], v[35:36]
	v_fma_f64 v[45:46], v[149:150], s[44:45], -v[45:46]
	v_add_f64 v[29:30], v[1:2], v[29:30]
	v_fma_f64 v[37:38], v[91:92], s[38:39], v[37:38]
	v_add_f64 v[33:34], v[41:42], v[33:34]
	v_mul_f64 v[51:52], v[135:136], s[20:21]
	v_fma_f64 v[189:190], v[165:166], s[34:35], v[183:184]
	v_add_f64 v[47:48], v[195:196], v[47:48]
	v_fma_f64 v[41:42], v[83:84], s[62:63], v[43:44]
	v_add_f64 v[35:36], v[181:182], v[35:36]
	v_fma_f64 v[185:186], v[141:142], s[36:37], -v[185:186]
	v_add_f64 v[45:46], v[45:46], v[29:30]
	v_fma_f64 v[43:44], v[83:84], s[20:21], v[43:44]
	v_add_f64 v[33:34], v[37:38], v[33:34]
	v_fma_f64 v[31:32], v[83:84], s[56:57], v[31:32]
	v_fma_f64 v[181:182], v[163:164], s[16:17], v[51:52]
	v_add_f64 v[47:48], v[189:190], v[47:48]
	v_add_f64 v[29:30], v[39:40], v[27:28]
	v_fma_f64 v[37:38], v[119:120], s[30:31], -v[191:192]
	v_mul_f64 v[39:40], v[177:178], s[24:25]
	v_add_f64 v[45:46], v[185:186], v[45:46]
	v_add_f64 v[27:28], v[41:42], v[35:36]
	;; [unrolled: 1-line block ×3, first 2 shown]
	v_mul_f64 v[33:34], v[159:160], s[22:23]
	v_add_f64 v[31:32], v[31:32], v[25:26]
	v_add_f64 v[25:26], v[181:182], v[47:48]
	v_fma_f64 v[41:42], v[169:170], s[46:47], -v[187:188]
	v_mul_f64 v[43:44], v[175:176], s[46:47]
	v_fma_f64 v[47:48], v[113:114], s[64:65], v[39:40]
	v_add_f64 v[37:38], v[37:38], v[45:46]
	v_mul_f64 v[181:182], v[157:158], s[40:41]
	v_fma_f64 v[185:186], v[151:152], s[24:25], v[33:34]
	v_fma_f64 v[45:46], v[163:164], s[16:17], -v[51:52]
	v_fma_f64 v[51:52], v[167:168], s[24:25], -v[193:194]
	v_mul_f64 v[187:188], v[173:174], s[12:13]
	v_fma_f64 v[189:190], v[111:112], s[54:55], v[43:44]
	v_add_f64 v[47:48], v[3:4], v[47:48]
	v_add_f64 v[37:38], v[41:42], v[37:38]
	v_fma_f64 v[41:42], v[165:166], s[34:35], -v[183:184]
	v_mul_f64 v[183:184], v[155:156], s[52:53]
	v_fma_f64 v[191:192], v[149:150], s[46:47], v[181:182]
	v_add_f64 v[185:186], v[1:2], v[185:186]
	v_mul_f64 v[193:194], v[171:172], s[34:35]
	v_fma_f64 v[195:196], v[109:110], s[18:19], v[187:188]
	v_add_f64 v[47:48], v[189:190], v[47:48]
	v_add_f64 v[37:38], v[51:52], v[37:38]
	v_mul_f64 v[51:52], v[153:154], s[58:59]
	v_fma_f64 v[39:40], v[113:114], s[22:23], v[39:40]
	v_fma_f64 v[189:190], v[141:142], s[12:13], v[183:184]
	v_add_f64 v[185:186], v[191:192], v[185:186]
	v_mul_f64 v[191:192], v[161:162], s[30:31]
	v_fma_f64 v[197:198], v[107:108], s[38:39], v[193:194]
	v_add_f64 v[47:48], v[195:196], v[47:48]
	v_mul_f64 v[195:196], v[143:144], s[26:27]
	v_fma_f64 v[43:44], v[111:112], s[40:41], v[43:44]
	v_add_f64 v[39:40], v[3:4], v[39:40]
	v_fma_f64 v[199:200], v[119:120], s[34:35], v[51:52]
	v_add_f64 v[185:186], v[189:190], v[185:186]
	v_mul_f64 v[189:190], v[147:148], s[44:45]
	v_fma_f64 v[201:202], v[103:104], s[56:57], v[191:192]
	v_add_f64 v[47:48], v[197:198], v[47:48]
	v_mul_f64 v[197:198], v[139:140], s[42:43]
	v_fma_f64 v[187:188], v[109:110], s[52:53], v[187:188]
	v_add_f64 v[39:40], v[43:44], v[39:40]
	;; [unrolled: 8-line block ×4, first 2 shown]
	v_fma_f64 v[193:194], v[165:166], s[16:17], v[201:202]
	v_add_f64 v[43:44], v[187:188], v[43:44]
	v_add_f64 v[37:38], v[41:42], v[37:38]
	v_fma_f64 v[41:42], v[83:84], s[28:29], v[185:186]
	v_add_f64 v[47:48], v[205:206], v[47:48]
	v_fma_f64 v[187:188], v[151:152], s[24:25], -v[33:34]
	v_fma_f64 v[189:190], v[97:98], s[42:43], v[189:190]
	v_add_f64 v[39:40], v[191:192], v[39:40]
	v_fma_f64 v[191:192], v[163:164], s[36:37], v[203:204]
	v_add_f64 v[43:44], v[193:194], v[43:44]
	v_add_f64 v[33:34], v[45:46], v[37:38]
	v_fma_f64 v[45:46], v[149:150], s[46:47], -v[181:182]
	v_mul_f64 v[181:182], v[177:178], s[30:31]
	v_add_f64 v[187:188], v[1:2], v[187:188]
	v_fma_f64 v[193:194], v[91:92], s[62:63], v[199:200]
	v_add_f64 v[189:190], v[189:190], v[39:40]
	v_add_f64 v[39:40], v[41:42], v[47:48]
	;; [unrolled: 1-line block ×3, first 2 shown]
	v_mul_f64 v[43:44], v[175:176], s[16:17]
	v_fma_f64 v[41:42], v[141:142], s[12:13], -v[183:184]
	v_fma_f64 v[47:48], v[113:114], s[56:57], v[181:182]
	v_add_f64 v[45:46], v[45:46], v[187:188]
	v_fma_f64 v[183:184], v[83:84], s[60:61], v[185:186]
	v_add_f64 v[185:186], v[193:194], v[189:190]
	v_mul_f64 v[187:188], v[173:174], s[46:47]
	v_mul_f64 v[189:190], v[159:160], s[26:27]
	v_fma_f64 v[191:192], v[111:112], s[62:63], v[43:44]
	v_fma_f64 v[51:52], v[119:120], s[34:35], -v[51:52]
	v_add_f64 v[47:48], v[3:4], v[47:48]
	v_add_f64 v[41:42], v[41:42], v[45:46]
	v_fma_f64 v[45:46], v[163:164], s[36:37], -v[203:204]
	v_fma_f64 v[193:194], v[169:170], s[30:31], -v[195:196]
	v_mul_f64 v[195:196], v[171:172], s[12:13]
	v_mul_f64 v[199:200], v[157:158], s[20:21]
	v_fma_f64 v[203:204], v[151:152], s[30:31], v[189:190]
	v_fma_f64 v[205:206], v[109:110], s[40:41], v[187:188]
	v_add_f64 v[47:48], v[191:192], v[47:48]
	v_add_f64 v[41:42], v[51:52], v[41:42]
	v_fma_f64 v[51:52], v[167:168], s[44:45], -v[197:198]
	v_mul_f64 v[191:192], v[161:162], s[36:37]
	v_mul_f64 v[197:198], v[155:156], s[54:55]
	v_fma_f64 v[207:208], v[149:150], s[16:17], v[199:200]
	v_add_f64 v[203:204], v[1:2], v[203:204]
	v_fma_f64 v[209:210], v[107:108], s[18:19], v[195:196]
	v_add_f64 v[47:48], v[205:206], v[47:48]
	v_add_f64 v[41:42], v[193:194], v[41:42]
	v_fma_f64 v[193:194], v[165:166], s[16:17], -v[201:202]
	v_mul_f64 v[201:202], v[147:148], s[34:35]
	v_mul_f64 v[205:206], v[153:154], s[52:53]
	v_fma_f64 v[211:212], v[141:142], s[46:47], v[197:198]
	v_add_f64 v[203:204], v[207:208], v[203:204]
	v_fma_f64 v[207:208], v[103:104], s[28:29], v[191:192]
	v_add_f64 v[47:48], v[209:210], v[47:48]
	v_fma_f64 v[181:182], v[113:114], s[26:27], v[181:182]
	v_add_f64 v[41:42], v[51:52], v[41:42]
	v_mul_f64 v[51:52], v[133:134], s[24:25]
	v_mul_f64 v[209:210], v[143:144], s[60:61]
	v_fma_f64 v[213:214], v[119:120], s[12:13], v[205:206]
	v_add_f64 v[203:204], v[211:212], v[203:204]
	v_fma_f64 v[211:212], v[97:98], s[58:59], v[201:202]
	v_add_f64 v[47:48], v[207:208], v[47:48]
	v_fma_f64 v[43:44], v[111:112], s[20:21], v[43:44]
	v_add_f64 v[181:182], v[3:4], v[181:182]
	;; [unrolled: 8-line block ×3, first 2 shown]
	v_add_f64 v[41:42], v[193:194], v[41:42]
	v_mul_f64 v[193:194], v[137:138], s[22:23]
	v_fma_f64 v[211:212], v[167:168], s[34:35], v[215:216]
	v_add_f64 v[181:182], v[217:218], v[203:204]
	v_fma_f64 v[203:204], v[83:84], s[50:51], v[207:208]
	v_add_f64 v[213:214], v[213:214], v[47:48]
	v_add_f64 v[47:48], v[183:184], v[185:186]
	v_fma_f64 v[185:186], v[107:108], s[52:53], v[195:196]
	v_add_f64 v[187:188], v[187:188], v[43:44]
	v_mul_f64 v[195:196], v[177:178], s[36:37]
	v_fma_f64 v[183:184], v[165:166], s[24:25], v[193:194]
	v_add_f64 v[181:182], v[211:212], v[181:182]
	v_fma_f64 v[191:192], v[103:104], s[60:61], v[191:192]
	v_add_f64 v[43:44], v[203:204], v[213:214]
	v_fma_f64 v[189:190], v[151:152], s[30:31], -v[189:190]
	v_fma_f64 v[199:200], v[149:150], s[16:17], -v[199:200]
	v_add_f64 v[185:186], v[185:186], v[187:188]
	v_fma_f64 v[187:188], v[97:98], s[38:39], v[201:202]
	v_mul_f64 v[201:202], v[175:176], s[24:25]
	v_fma_f64 v[203:204], v[113:114], s[60:61], v[195:196]
	v_add_f64 v[181:182], v[183:184], v[181:182]
	v_fma_f64 v[183:184], v[83:84], s[42:43], v[207:208]
	v_add_f64 v[189:190], v[1:2], v[189:190]
	v_mul_f64 v[207:208], v[173:174], s[16:17]
	v_add_f64 v[185:186], v[191:192], v[185:186]
	v_mul_f64 v[191:192], v[159:160], s[28:29]
	v_fma_f64 v[211:212], v[111:112], s[64:65], v[201:202]
	v_add_f64 v[203:204], v[3:4], v[203:204]
	v_fma_f64 v[197:198], v[141:142], s[46:47], -v[197:198]
	v_mul_f64 v[213:214], v[171:172], s[46:47]
	v_add_f64 v[189:190], v[199:200], v[189:190]
	v_fma_f64 v[219:220], v[109:110], s[62:63], v[207:208]
	v_add_f64 v[185:186], v[187:188], v[185:186]
	v_mul_f64 v[187:188], v[157:158], s[22:23]
	v_fma_f64 v[199:200], v[151:152], s[36:37], v[191:192]
	v_add_f64 v[203:204], v[211:212], v[203:204]
	v_fma_f64 v[205:206], v[119:120], s[12:13], -v[205:206]
	v_mul_f64 v[221:222], v[161:162], s[44:45]
	v_add_f64 v[189:190], v[197:198], v[189:190]
	v_mul_f64 v[197:198], v[155:156], s[20:21]
	v_fma_f64 v[223:224], v[107:108], s[54:55], v[213:214]
	v_fma_f64 v[211:212], v[149:150], s[24:25], v[187:188]
	v_add_f64 v[199:200], v[1:2], v[199:200]
	v_add_f64 v[203:204], v[219:220], v[203:204]
	v_fma_f64 v[209:210], v[169:170], s[36:37], -v[209:210]
	v_fma_f64 v[225:226], v[103:104], s[42:43], v[221:222]
	v_add_f64 v[189:190], v[205:206], v[189:190]
	v_mul_f64 v[205:206], v[153:154], s[40:41]
	v_fma_f64 v[219:220], v[141:142], s[16:17], v[197:198]
	v_fma_f64 v[215:216], v[167:168], s[34:35], -v[215:216]
	v_add_f64 v[199:200], v[211:212], v[199:200]
	v_mul_f64 v[211:212], v[147:148], s[12:13]
	v_add_f64 v[203:204], v[223:224], v[203:204]
	v_mul_f64 v[217:218], v[135:136], s[42:43]
	v_add_f64 v[189:190], v[209:210], v[189:190]
	v_fma_f64 v[223:224], v[119:120], s[46:47], v[205:206]
	v_fma_f64 v[51:52], v[91:92], s[22:23], v[51:52]
	v_fma_f64 v[193:194], v[165:166], s[24:25], -v[193:194]
	v_add_f64 v[199:200], v[219:220], v[199:200]
	v_mul_f64 v[219:220], v[133:134], s[30:31]
	v_fma_f64 v[227:228], v[97:98], s[18:19], v[211:212]
	v_add_f64 v[203:204], v[225:226], v[203:204]
	v_add_f64 v[189:190], v[215:216], v[189:190]
	;; [unrolled: 1-line block ×3, first 2 shown]
	v_fma_f64 v[41:42], v[163:164], s[44:45], v[217:218]
	v_add_f64 v[51:52], v[51:52], v[185:186]
	v_add_f64 v[199:200], v[223:224], v[199:200]
	v_mul_f64 v[223:224], v[121:122], s[34:35]
	v_fma_f64 v[229:230], v[91:92], s[26:27], v[219:220]
	v_add_f64 v[203:204], v[227:228], v[203:204]
	v_fma_f64 v[185:186], v[163:164], s[44:45], -v[217:218]
	v_add_f64 v[189:190], v[193:194], v[189:190]
	v_fma_f64 v[195:196], v[113:114], s[28:29], v[195:196]
	v_mul_f64 v[177:178], v[177:178], s[34:35]
	v_add_f64 v[41:42], v[41:42], v[181:182]
	v_fma_f64 v[193:194], v[83:84], s[38:39], v[223:224]
	v_add_f64 v[183:184], v[183:184], v[51:52]
	v_add_f64 v[203:204], v[229:230], v[203:204]
	v_fma_f64 v[191:192], v[151:152], s[36:37], -v[191:192]
	v_add_f64 v[181:182], v[185:186], v[189:190]
	v_fma_f64 v[189:190], v[111:112], s[22:23], v[201:202]
	v_mul_f64 v[175:176], v[175:176], s[36:37]
	v_fma_f64 v[207:208], v[109:110], s[20:21], v[207:208]
	v_fma_f64 v[187:188], v[149:150], s[24:25], -v[187:188]
	v_mul_f64 v[173:174], v[173:174], s[30:31]
	v_add_f64 v[51:52], v[193:194], v[203:204]
	v_add_f64 v[193:194], v[3:4], v[195:196]
	v_fma_f64 v[203:204], v[113:114], s[58:59], v[177:178]
	v_add_f64 v[191:192], v[1:2], v[191:192]
	v_fma_f64 v[213:214], v[107:108], s[40:41], v[213:214]
	v_fma_f64 v[197:198], v[141:142], s[16:17], -v[197:198]
	v_mul_f64 v[171:172], v[171:172], s[24:25]
	v_add_f64 v[145:146], v[3:4], v[145:146]
	v_mul_f64 v[209:210], v[143:144], s[50:51]
	v_add_f64 v[189:190], v[189:190], v[193:194]
	v_fma_f64 v[193:194], v[97:98], s[52:53], v[211:212]
	v_fma_f64 v[211:212], v[111:112], s[60:61], v[175:176]
	v_add_f64 v[203:204], v[3:4], v[203:204]
	v_add_f64 v[187:188], v[187:188], v[191:192]
	v_fma_f64 v[191:192], v[103:104], s[50:51], v[221:222]
	v_fma_f64 v[205:206], v[119:120], s[46:47], -v[205:206]
	v_mul_f64 v[161:162], v[161:162], s[12:13]
	v_add_f64 v[189:190], v[207:208], v[189:190]
	v_fma_f64 v[207:208], v[109:110], s[56:57], v[173:174]
	v_add_f64 v[131:132], v[1:2], v[131:132]
	v_add_f64 v[203:204], v[211:212], v[203:204]
	;; [unrolled: 1-line block ×3, first 2 shown]
	v_fma_f64 v[197:198], v[107:108], s[64:65], v[171:172]
	v_add_f64 v[127:128], v[145:146], v[127:128]
	v_mul_f64 v[147:148], v[147:148], s[16:17]
	v_add_f64 v[189:190], v[213:214], v[189:190]
	v_mul_f64 v[215:216], v[139:140], s[52:53]
	v_add_f64 v[129:130], v[131:132], v[129:130]
	v_add_f64 v[203:204], v[207:208], v[203:204]
	;; [unrolled: 1-line block ×3, first 2 shown]
	v_mul_f64 v[133:134], v[133:134], s[44:45]
	v_add_f64 v[123:124], v[127:128], v[123:124]
	v_fma_f64 v[225:226], v[169:170], s[44:45], v[209:210]
	v_add_f64 v[145:146], v[191:192], v[189:190]
	v_fma_f64 v[189:190], v[169:170], s[44:45], -v[209:210]
	v_fma_f64 v[191:192], v[103:104], s[52:53], v[161:162]
	v_add_f64 v[131:132], v[197:198], v[203:204]
	v_add_f64 v[125:126], v[129:130], v[125:126]
	v_mul_f64 v[217:218], v[137:138], s[56:57]
	v_add_f64 v[115:116], v[123:124], v[115:116]
	v_add_f64 v[199:200], v[225:226], v[199:200]
	;; [unrolled: 1-line block ×4, first 2 shown]
	v_fma_f64 v[189:190], v[97:98], s[62:63], v[147:148]
	v_add_f64 v[129:130], v[191:192], v[131:132]
	v_fma_f64 v[145:146], v[167:168], s[12:13], -v[215:216]
	v_add_f64 v[117:118], v[125:126], v[117:118]
	v_mul_f64 v[225:226], v[135:136], s[58:59]
	v_fma_f64 v[113:114], v[113:114], s[38:39], v[177:178]
	v_fma_f64 v[227:228], v[167:168], s[12:13], v[215:216]
	;; [unrolled: 1-line block ×4, first 2 shown]
	v_add_f64 v[125:126], v[189:190], v[129:130]
	v_add_f64 v[129:130], v[115:116], v[49:50]
	v_add_f64 v[131:132], v[145:146], v[187:188]
	v_fma_f64 v[145:146], v[91:92], s[50:51], v[133:134]
	v_add_f64 v[105:106], v[117:118], v[105:106]
	v_add_f64 v[3:4], v[3:4], v[113:114]
	;; [unrolled: 1-line block ×3, first 2 shown]
	v_mul_f64 v[121:122], v[121:122], s[46:47]
	v_add_f64 v[123:124], v[201:202], v[127:128]
	v_add_f64 v[101:102], v[129:130], v[101:102]
	v_mul_f64 v[129:130], v[135:136], s[40:41]
	v_add_f64 v[117:118], v[145:146], v[125:126]
	v_mul_f64 v[125:126], v[159:160], s[38:39]
	;; [unrolled: 2-line block ×3, first 2 shown]
	v_mul_f64 v[137:138], v[139:140], s[20:21]
	v_mul_f64 v[139:140], v[157:158], s[28:29]
	v_add_f64 v[95:96], v[101:102], v[95:96]
	v_mul_f64 v[105:106], v[143:144], s[18:19]
	v_mul_f64 v[143:144], v[153:154], s[22:23]
	v_fma_f64 v[101:102], v[151:152], s[34:35], v[125:126]
	v_add_f64 v[93:94], v[99:100], v[93:94]
	v_mul_f64 v[145:146], v[155:156], s[26:27]
	v_fma_f64 v[99:100], v[151:152], s[34:35], -v[125:126]
	v_fma_f64 v[153:154], v[149:150], s[36:37], v[139:140]
	v_add_f64 v[89:90], v[95:96], v[89:90]
	v_fma_f64 v[113:114], v[149:150], s[36:37], -v[139:140]
	v_add_f64 v[195:196], v[229:230], v[199:200]
	v_add_f64 v[95:96], v[1:2], v[101:102]
	v_add_f64 v[87:88], v[93:94], v[87:88]
	v_fma_f64 v[101:102], v[111:112], s[28:29], v[175:176]
	v_fma_f64 v[111:112], v[141:142], s[30:31], v[145:146]
	v_add_f64 v[1:2], v[1:2], v[99:100]
	v_add_f64 v[85:86], v[89:90], v[85:86]
	v_fma_f64 v[93:94], v[109:110], s[26:27], v[173:174]
	v_fma_f64 v[99:100], v[141:142], s[30:31], -v[145:146]
	v_add_f64 v[89:90], v[153:154], v[95:96]
	v_add_f64 v[79:80], v[87:88], v[79:80]
	;; [unrolled: 1-line block ×3, first 2 shown]
	v_fma_f64 v[95:96], v[119:120], s[24:25], v[143:144]
	v_add_f64 v[1:2], v[113:114], v[1:2]
	v_add_f64 v[81:82], v[85:86], v[81:82]
	v_fma_f64 v[87:88], v[107:108], s[22:23], v[171:172]
	v_fma_f64 v[199:200], v[83:84], s[58:59], v[223:224]
	v_add_f64 v[85:86], v[111:112], v[89:90]
	v_add_f64 v[73:74], v[79:80], v[73:74]
	v_add_f64 v[3:4], v[93:94], v[3:4]
	v_fma_f64 v[89:90], v[169:170], s[12:13], v[105:106]
	v_fma_f64 v[93:94], v[119:120], s[24:25], -v[143:144]
	v_add_f64 v[75:76], v[81:82], v[75:76]
	v_add_f64 v[1:2], v[99:100], v[1:2]
	v_fma_f64 v[81:82], v[103:104], s[18:19], v[161:162]
	v_add_f64 v[79:80], v[95:96], v[85:86]
	v_add_f64 v[67:68], v[73:74], v[67:68]
	v_add_f64 v[3:4], v[87:88], v[3:4]
	v_fma_f64 v[85:86], v[167:168], s[16:17], v[137:138]
	v_fma_f64 v[87:88], v[169:170], s[12:13], -v[105:106]
	v_add_f64 v[69:70], v[75:76], v[69:70]
	v_add_f64 v[1:2], v[93:94], v[1:2]
	;; [unrolled: 8-line block ×4, first 2 shown]
	v_fma_f64 v[127:128], v[165:166], s[30:31], -v[217:218]
	v_add_f64 v[65:66], v[79:80], v[67:68]
	v_add_f64 v[61:62], v[61:62], v[71:72]
	v_fma_f64 v[67:68], v[83:84], s[40:41], v[121:122]
	v_add_f64 v[69:70], v[69:70], v[3:4]
	v_fma_f64 v[77:78], v[163:164], s[46:47], -v[129:130]
	v_add_f64 v[63:64], v[63:64], v[59:60]
	v_add_f64 v[71:72], v[75:76], v[1:2]
	;; [unrolled: 1-line block ×4, first 2 shown]
	v_mad_u64_u32 v[65:66], s[12:13], s0, v179, 0
	v_add_f64 v[61:62], v[61:62], v[57:58]
	v_fma_f64 v[123:124], v[163:164], s[34:35], -v[225:226]
	v_add_f64 v[63:64], v[63:64], v[53:54]
	v_mov_b32_e32 v53, v66
	v_mad_u64_u32 v[53:54], s[0:1], s1, v179, v[53:54]
	s_mov_b32 s0, 0x226b903
	v_mul_hi_u32 v0, v0, s0
	s_movk_i32 s0, 0x121
	v_add_f64 v[127:128], v[127:128], v[131:132]
	v_add_f64 v[61:62], v[61:62], v[55:56]
	v_mad_u32_u24 v0, v0, s0, v180
	s_lshl_b64 s[0:1], s[10:11], 4
	s_add_u32 s3, s4, s0
	s_addc_u32 s4, s5, s1
	s_lshl_b64 s[0:1], s[6:7], 4
	s_add_u32 s3, s3, s0
	v_mov_b32_e32 v66, v53
	v_mul_lo_u32 v53, v0, s2
	s_addc_u32 s4, s4, s1
	s_lshl_b64 s[0:1], s[8:9], 4
	s_add_u32 s0, s3, s0
	v_lshlrev_b64 v[55:56], 4, v[65:66]
	s_addc_u32 s1, s4, s1
	v_mov_b32_e32 v54, 0
	v_mov_b32_e32 v0, s1
	v_add_co_u32_e32 v65, vcc, s0, v55
	v_add_f64 v[59:60], v[67:68], v[69:70]
	v_add_f64 v[57:58], v[77:78], v[71:72]
	v_addc_co_u32_e32 v0, vcc, v0, v56, vcc
	v_lshlrev_b64 v[55:56], 4, v[53:54]
	s_mul_i32 s0, s2, 17
	v_add_co_u32_e32 v55, vcc, v65, v55
	v_addc_co_u32_e32 v56, vcc, v0, v56, vcc
	v_add_u32_e32 v53, s0, v53
	v_add_f64 v[113:114], v[123:124], v[127:128]
	global_store_dwordx4 v[55:56], v[61:64], off
	v_lshlrev_b64 v[55:56], 4, v[53:54]
	v_add_u32_e32 v53, s0, v53
	v_add_co_u32_e32 v55, vcc, v65, v55
	v_addc_co_u32_e32 v56, vcc, v0, v56, vcc
	global_store_dwordx4 v[55:56], v[57:60], off
	v_lshlrev_b64 v[55:56], 4, v[53:54]
	v_add_u32_e32 v53, s0, v53
	v_add_co_u32_e32 v55, vcc, v65, v55
	v_addc_co_u32_e32 v56, vcc, v0, v56, vcc
	;; [unrolled: 5-line block ×4, first 2 shown]
	global_store_dwordx4 v[55:56], v[45:48], off
	v_fma_f64 v[185:186], v[163:164], s[34:35], v[225:226]
	v_lshlrev_b64 v[45:46], 4, v[53:54]
	v_add_u32_e32 v53, s0, v53
	v_add_co_u32_e32 v45, vcc, v65, v45
	v_addc_co_u32_e32 v46, vcc, v0, v46, vcc
	global_store_dwordx4 v[45:46], v[33:36], off
	v_fma_f64 v[131:132], v[83:84], s[54:55], v[121:122]
	v_lshlrev_b64 v[33:34], 4, v[53:54]
	v_add_u32_e32 v53, s0, v53
	v_add_co_u32_e32 v33, vcc, v65, v33
	v_addc_co_u32_e32 v34, vcc, v0, v34, vcc
	global_store_dwordx4 v[33:34], v[29:32], off
	v_add_f64 v[49:50], v[185:186], v[195:196]
	v_lshlrev_b64 v[29:30], 4, v[53:54]
	v_add_u32_e32 v53, s0, v53
	v_add_co_u32_e32 v29, vcc, v65, v29
	v_addc_co_u32_e32 v30, vcc, v0, v30, vcc
	global_store_dwordx4 v[29:30], v[17:20], off
	v_add_f64 v[3:4], v[131:132], v[117:118]
	v_lshlrev_b64 v[17:18], 4, v[53:54]
	v_add_u32_e32 v53, s0, v53
	v_add_co_u32_e32 v17, vcc, v65, v17
	v_addc_co_u32_e32 v18, vcc, v0, v18, vcc
	global_store_dwordx4 v[17:18], v[13:16], off
	s_nop 0
	v_lshlrev_b64 v[13:14], 4, v[53:54]
	v_add_u32_e32 v53, s0, v53
	v_add_co_u32_e32 v13, vcc, v65, v13
	v_addc_co_u32_e32 v14, vcc, v0, v14, vcc
	global_store_dwordx4 v[13:14], v[5:8], off
	s_nop 0
	v_lshlrev_b64 v[5:6], 4, v[53:54]
	v_add_u32_e32 v53, s0, v53
	v_add_co_u32_e32 v5, vcc, v65, v5
	v_addc_co_u32_e32 v6, vcc, v0, v6, vcc
	global_store_dwordx4 v[5:6], v[9:12], off
	v_lshlrev_b64 v[5:6], 4, v[53:54]
	v_add_u32_e32 v53, s0, v53
	v_add_co_u32_e32 v5, vcc, v65, v5
	v_addc_co_u32_e32 v6, vcc, v0, v6, vcc
	global_store_dwordx4 v[5:6], v[21:24], off
	;; [unrolled: 5-line block ×6, first 2 shown]
	v_lshlrev_b64 v[5:6], 4, v[53:54]
	v_add_co_u32_e32 v5, vcc, v65, v5
	v_addc_co_u32_e32 v6, vcc, v0, v6, vcc
	global_store_dwordx4 v[5:6], v[1:4], off
.LBB0_12:
	s_endpgm
	.section	.rodata,"a",@progbits
	.p2align	6, 0x0
	.amdhsa_kernel fft_rtc_fwd_len289_factors_17_17_wgs_119_tpt_17_dp_op_CI_CI_sbrc_xy_z_unaligned_dirReg
		.amdhsa_group_segment_fixed_size 0
		.amdhsa_private_segment_fixed_size 0
		.amdhsa_kernarg_size 104
		.amdhsa_user_sgpr_count 6
		.amdhsa_user_sgpr_private_segment_buffer 1
		.amdhsa_user_sgpr_dispatch_ptr 0
		.amdhsa_user_sgpr_queue_ptr 0
		.amdhsa_user_sgpr_kernarg_segment_ptr 1
		.amdhsa_user_sgpr_dispatch_id 0
		.amdhsa_user_sgpr_flat_scratch_init 0
		.amdhsa_user_sgpr_private_segment_size 0
		.amdhsa_uses_dynamic_stack 0
		.amdhsa_system_sgpr_private_segment_wavefront_offset 0
		.amdhsa_system_sgpr_workgroup_id_x 1
		.amdhsa_system_sgpr_workgroup_id_y 0
		.amdhsa_system_sgpr_workgroup_id_z 0
		.amdhsa_system_sgpr_workgroup_info 0
		.amdhsa_system_vgpr_workitem_id 0
		.amdhsa_next_free_vgpr 231
		.amdhsa_next_free_sgpr 67
		.amdhsa_reserve_vcc 1
		.amdhsa_reserve_flat_scratch 0
		.amdhsa_float_round_mode_32 0
		.amdhsa_float_round_mode_16_64 0
		.amdhsa_float_denorm_mode_32 3
		.amdhsa_float_denorm_mode_16_64 3
		.amdhsa_dx10_clamp 1
		.amdhsa_ieee_mode 1
		.amdhsa_fp16_overflow 0
		.amdhsa_exception_fp_ieee_invalid_op 0
		.amdhsa_exception_fp_denorm_src 0
		.amdhsa_exception_fp_ieee_div_zero 0
		.amdhsa_exception_fp_ieee_overflow 0
		.amdhsa_exception_fp_ieee_underflow 0
		.amdhsa_exception_fp_ieee_inexact 0
		.amdhsa_exception_int_div_zero 0
	.end_amdhsa_kernel
	.text
.Lfunc_end0:
	.size	fft_rtc_fwd_len289_factors_17_17_wgs_119_tpt_17_dp_op_CI_CI_sbrc_xy_z_unaligned_dirReg, .Lfunc_end0-fft_rtc_fwd_len289_factors_17_17_wgs_119_tpt_17_dp_op_CI_CI_sbrc_xy_z_unaligned_dirReg
                                        ; -- End function
	.section	.AMDGPU.csdata,"",@progbits
; Kernel info:
; codeLenInByte = 16460
; NumSgprs: 71
; NumVgprs: 231
; ScratchSize: 0
; MemoryBound: 0
; FloatMode: 240
; IeeeMode: 1
; LDSByteSize: 0 bytes/workgroup (compile time only)
; SGPRBlocks: 8
; VGPRBlocks: 57
; NumSGPRsForWavesPerEU: 71
; NumVGPRsForWavesPerEU: 231
; Occupancy: 1
; WaveLimiterHint : 1
; COMPUTE_PGM_RSRC2:SCRATCH_EN: 0
; COMPUTE_PGM_RSRC2:USER_SGPR: 6
; COMPUTE_PGM_RSRC2:TRAP_HANDLER: 0
; COMPUTE_PGM_RSRC2:TGID_X_EN: 1
; COMPUTE_PGM_RSRC2:TGID_Y_EN: 0
; COMPUTE_PGM_RSRC2:TGID_Z_EN: 0
; COMPUTE_PGM_RSRC2:TIDIG_COMP_CNT: 0
	.type	__hip_cuid_a26e0ae661e29658,@object ; @__hip_cuid_a26e0ae661e29658
	.section	.bss,"aw",@nobits
	.globl	__hip_cuid_a26e0ae661e29658
__hip_cuid_a26e0ae661e29658:
	.byte	0                               ; 0x0
	.size	__hip_cuid_a26e0ae661e29658, 1

	.ident	"AMD clang version 19.0.0git (https://github.com/RadeonOpenCompute/llvm-project roc-6.4.0 25133 c7fe45cf4b819c5991fe208aaa96edf142730f1d)"
	.section	".note.GNU-stack","",@progbits
	.addrsig
	.addrsig_sym __hip_cuid_a26e0ae661e29658
	.amdgpu_metadata
---
amdhsa.kernels:
  - .args:
      - .actual_access:  read_only
        .address_space:  global
        .offset:         0
        .size:           8
        .value_kind:     global_buffer
      - .offset:         8
        .size:           8
        .value_kind:     by_value
      - .actual_access:  read_only
        .address_space:  global
        .offset:         16
        .size:           8
        .value_kind:     global_buffer
      - .actual_access:  read_only
        .address_space:  global
        .offset:         24
        .size:           8
        .value_kind:     global_buffer
      - .actual_access:  read_only
        .address_space:  global
        .offset:         32
        .size:           8
        .value_kind:     global_buffer
      - .offset:         40
        .size:           8
        .value_kind:     by_value
      - .actual_access:  read_only
        .address_space:  global
        .offset:         48
        .size:           8
        .value_kind:     global_buffer
      - .actual_access:  read_only
        .address_space:  global
        .offset:         56
        .size:           8
        .value_kind:     global_buffer
      - .offset:         64
        .size:           4
        .value_kind:     by_value
      - .actual_access:  read_only
        .address_space:  global
        .offset:         72
        .size:           8
        .value_kind:     global_buffer
      - .actual_access:  read_only
        .address_space:  global
        .offset:         80
        .size:           8
        .value_kind:     global_buffer
      - .actual_access:  read_only
        .address_space:  global
        .offset:         88
        .size:           8
        .value_kind:     global_buffer
      - .actual_access:  write_only
        .address_space:  global
        .offset:         96
        .size:           8
        .value_kind:     global_buffer
    .group_segment_fixed_size: 0
    .kernarg_segment_align: 8
    .kernarg_segment_size: 104
    .language:       OpenCL C
    .language_version:
      - 2
      - 0
    .max_flat_workgroup_size: 119
    .name:           fft_rtc_fwd_len289_factors_17_17_wgs_119_tpt_17_dp_op_CI_CI_sbrc_xy_z_unaligned_dirReg
    .private_segment_fixed_size: 0
    .sgpr_count:     71
    .sgpr_spill_count: 0
    .symbol:         fft_rtc_fwd_len289_factors_17_17_wgs_119_tpt_17_dp_op_CI_CI_sbrc_xy_z_unaligned_dirReg.kd
    .uniform_work_group_size: 1
    .uses_dynamic_stack: false
    .vgpr_count:     231
    .vgpr_spill_count: 0
    .wavefront_size: 64
amdhsa.target:   amdgcn-amd-amdhsa--gfx906
amdhsa.version:
  - 1
  - 2
...

	.end_amdgpu_metadata
